;; amdgpu-corpus repo=ROCm/rocFFT kind=compiled arch=gfx1030 opt=O3
	.text
	.amdgcn_target "amdgcn-amd-amdhsa--gfx1030"
	.amdhsa_code_object_version 6
	.protected	fft_rtc_fwd_len816_factors_17_2_3_2_2_2_wgs_51_tpt_51_halfLds_sp_op_CI_CI_unitstride_sbrr_R2C_dirReg ; -- Begin function fft_rtc_fwd_len816_factors_17_2_3_2_2_2_wgs_51_tpt_51_halfLds_sp_op_CI_CI_unitstride_sbrr_R2C_dirReg
	.globl	fft_rtc_fwd_len816_factors_17_2_3_2_2_2_wgs_51_tpt_51_halfLds_sp_op_CI_CI_unitstride_sbrr_R2C_dirReg
	.p2align	8
	.type	fft_rtc_fwd_len816_factors_17_2_3_2_2_2_wgs_51_tpt_51_halfLds_sp_op_CI_CI_unitstride_sbrr_R2C_dirReg,@function
fft_rtc_fwd_len816_factors_17_2_3_2_2_2_wgs_51_tpt_51_halfLds_sp_op_CI_CI_unitstride_sbrr_R2C_dirReg: ; @fft_rtc_fwd_len816_factors_17_2_3_2_2_2_wgs_51_tpt_51_halfLds_sp_op_CI_CI_unitstride_sbrr_R2C_dirReg
; %bb.0:
	s_clause 0x2
	s_load_dwordx4 s[12:15], s[4:5], 0x0
	s_load_dwordx4 s[8:11], s[4:5], 0x58
	;; [unrolled: 1-line block ×3, first 2 shown]
	v_mul_u32_u24_e32 v1, 0x506, v0
	v_mov_b32_e32 v3, 0
	v_add_nc_u32_sdwa v5, s6, v1 dst_sel:DWORD dst_unused:UNUSED_PAD src0_sel:DWORD src1_sel:WORD_1
	v_mov_b32_e32 v1, 0
	v_mov_b32_e32 v6, v3
	v_mov_b32_e32 v2, 0
	s_waitcnt lgkmcnt(0)
	v_cmp_lt_u64_e64 s0, s[14:15], 2
	s_and_b32 vcc_lo, exec_lo, s0
	s_cbranch_vccnz .LBB0_8
; %bb.1:
	s_load_dwordx2 s[0:1], s[4:5], 0x10
	v_mov_b32_e32 v1, 0
	v_mov_b32_e32 v2, 0
	s_add_u32 s2, s18, 8
	s_addc_u32 s3, s19, 0
	s_add_u32 s6, s16, 8
	s_addc_u32 s7, s17, 0
	v_mov_b32_e32 v33, v2
	v_mov_b32_e32 v32, v1
	s_mov_b64 s[22:23], 1
	s_waitcnt lgkmcnt(0)
	s_add_u32 s20, s0, 8
	s_addc_u32 s21, s1, 0
.LBB0_2:                                ; =>This Inner Loop Header: Depth=1
	s_load_dwordx2 s[24:25], s[20:21], 0x0
                                        ; implicit-def: $vgpr36_vgpr37
	s_mov_b32 s0, exec_lo
	s_waitcnt lgkmcnt(0)
	v_or_b32_e32 v4, s25, v6
	v_cmpx_ne_u64_e32 0, v[3:4]
	s_xor_b32 s1, exec_lo, s0
	s_cbranch_execz .LBB0_4
; %bb.3:                                ;   in Loop: Header=BB0_2 Depth=1
	v_cvt_f32_u32_e32 v4, s24
	v_cvt_f32_u32_e32 v7, s25
	s_sub_u32 s0, 0, s24
	s_subb_u32 s26, 0, s25
	v_fmac_f32_e32 v4, 0x4f800000, v7
	v_rcp_f32_e32 v4, v4
	v_mul_f32_e32 v4, 0x5f7ffffc, v4
	v_mul_f32_e32 v7, 0x2f800000, v4
	v_trunc_f32_e32 v7, v7
	v_fmac_f32_e32 v4, 0xcf800000, v7
	v_cvt_u32_f32_e32 v7, v7
	v_cvt_u32_f32_e32 v4, v4
	v_mul_lo_u32 v8, s0, v7
	v_mul_hi_u32 v9, s0, v4
	v_mul_lo_u32 v10, s26, v4
	v_add_nc_u32_e32 v8, v9, v8
	v_mul_lo_u32 v9, s0, v4
	v_add_nc_u32_e32 v8, v8, v10
	v_mul_hi_u32 v10, v4, v9
	v_mul_lo_u32 v11, v4, v8
	v_mul_hi_u32 v12, v4, v8
	v_mul_hi_u32 v13, v7, v9
	v_mul_lo_u32 v9, v7, v9
	v_mul_hi_u32 v14, v7, v8
	v_mul_lo_u32 v8, v7, v8
	v_add_co_u32 v10, vcc_lo, v10, v11
	v_add_co_ci_u32_e32 v11, vcc_lo, 0, v12, vcc_lo
	v_add_co_u32 v9, vcc_lo, v10, v9
	v_add_co_ci_u32_e32 v9, vcc_lo, v11, v13, vcc_lo
	v_add_co_ci_u32_e32 v10, vcc_lo, 0, v14, vcc_lo
	v_add_co_u32 v8, vcc_lo, v9, v8
	v_add_co_ci_u32_e32 v9, vcc_lo, 0, v10, vcc_lo
	v_add_co_u32 v4, vcc_lo, v4, v8
	v_add_co_ci_u32_e32 v7, vcc_lo, v7, v9, vcc_lo
	v_mul_hi_u32 v8, s0, v4
	v_mul_lo_u32 v10, s26, v4
	v_mul_lo_u32 v9, s0, v7
	v_add_nc_u32_e32 v8, v8, v9
	v_mul_lo_u32 v9, s0, v4
	v_add_nc_u32_e32 v8, v8, v10
	v_mul_hi_u32 v10, v4, v9
	v_mul_lo_u32 v11, v4, v8
	v_mul_hi_u32 v12, v4, v8
	v_mul_hi_u32 v13, v7, v9
	v_mul_lo_u32 v9, v7, v9
	v_mul_hi_u32 v14, v7, v8
	v_mul_lo_u32 v8, v7, v8
	v_add_co_u32 v10, vcc_lo, v10, v11
	v_add_co_ci_u32_e32 v11, vcc_lo, 0, v12, vcc_lo
	v_add_co_u32 v9, vcc_lo, v10, v9
	v_add_co_ci_u32_e32 v9, vcc_lo, v11, v13, vcc_lo
	v_add_co_ci_u32_e32 v10, vcc_lo, 0, v14, vcc_lo
	v_add_co_u32 v8, vcc_lo, v9, v8
	v_add_co_ci_u32_e32 v9, vcc_lo, 0, v10, vcc_lo
	v_add_co_u32 v4, vcc_lo, v4, v8
	v_add_co_ci_u32_e32 v11, vcc_lo, v7, v9, vcc_lo
	v_mul_hi_u32 v13, v5, v4
	v_mad_u64_u32 v[9:10], null, v6, v4, 0
	v_mad_u64_u32 v[7:8], null, v5, v11, 0
	;; [unrolled: 1-line block ×3, first 2 shown]
	v_add_co_u32 v4, vcc_lo, v13, v7
	v_add_co_ci_u32_e32 v7, vcc_lo, 0, v8, vcc_lo
	v_add_co_u32 v4, vcc_lo, v4, v9
	v_add_co_ci_u32_e32 v4, vcc_lo, v7, v10, vcc_lo
	v_add_co_ci_u32_e32 v7, vcc_lo, 0, v12, vcc_lo
	v_add_co_u32 v4, vcc_lo, v4, v11
	v_add_co_ci_u32_e32 v9, vcc_lo, 0, v7, vcc_lo
	v_mul_lo_u32 v10, s25, v4
	v_mad_u64_u32 v[7:8], null, s24, v4, 0
	v_mul_lo_u32 v11, s24, v9
	v_sub_co_u32 v7, vcc_lo, v5, v7
	v_add3_u32 v8, v8, v11, v10
	v_sub_nc_u32_e32 v10, v6, v8
	v_subrev_co_ci_u32_e64 v10, s0, s25, v10, vcc_lo
	v_add_co_u32 v11, s0, v4, 2
	v_add_co_ci_u32_e64 v12, s0, 0, v9, s0
	v_sub_co_u32 v13, s0, v7, s24
	v_sub_co_ci_u32_e32 v8, vcc_lo, v6, v8, vcc_lo
	v_subrev_co_ci_u32_e64 v10, s0, 0, v10, s0
	v_cmp_le_u32_e32 vcc_lo, s24, v13
	v_cmp_eq_u32_e64 s0, s25, v8
	v_cndmask_b32_e64 v13, 0, -1, vcc_lo
	v_cmp_le_u32_e32 vcc_lo, s25, v10
	v_cndmask_b32_e64 v14, 0, -1, vcc_lo
	v_cmp_le_u32_e32 vcc_lo, s24, v7
	;; [unrolled: 2-line block ×3, first 2 shown]
	v_cndmask_b32_e64 v15, 0, -1, vcc_lo
	v_cmp_eq_u32_e32 vcc_lo, s25, v10
	v_cndmask_b32_e64 v7, v15, v7, s0
	v_cndmask_b32_e32 v10, v14, v13, vcc_lo
	v_add_co_u32 v13, vcc_lo, v4, 1
	v_add_co_ci_u32_e32 v14, vcc_lo, 0, v9, vcc_lo
	v_cmp_ne_u32_e32 vcc_lo, 0, v10
	v_cndmask_b32_e32 v8, v14, v12, vcc_lo
	v_cndmask_b32_e32 v10, v13, v11, vcc_lo
	v_cmp_ne_u32_e32 vcc_lo, 0, v7
	v_cndmask_b32_e32 v37, v9, v8, vcc_lo
	v_cndmask_b32_e32 v36, v4, v10, vcc_lo
.LBB0_4:                                ;   in Loop: Header=BB0_2 Depth=1
	s_andn2_saveexec_b32 s0, s1
	s_cbranch_execz .LBB0_6
; %bb.5:                                ;   in Loop: Header=BB0_2 Depth=1
	v_cvt_f32_u32_e32 v4, s24
	s_sub_i32 s1, 0, s24
	v_mov_b32_e32 v37, v3
	v_rcp_iflag_f32_e32 v4, v4
	v_mul_f32_e32 v4, 0x4f7ffffe, v4
	v_cvt_u32_f32_e32 v4, v4
	v_mul_lo_u32 v7, s1, v4
	v_mul_hi_u32 v7, v4, v7
	v_add_nc_u32_e32 v4, v4, v7
	v_mul_hi_u32 v4, v5, v4
	v_mul_lo_u32 v7, v4, s24
	v_add_nc_u32_e32 v8, 1, v4
	v_sub_nc_u32_e32 v7, v5, v7
	v_subrev_nc_u32_e32 v9, s24, v7
	v_cmp_le_u32_e32 vcc_lo, s24, v7
	v_cndmask_b32_e32 v7, v7, v9, vcc_lo
	v_cndmask_b32_e32 v4, v4, v8, vcc_lo
	v_cmp_le_u32_e32 vcc_lo, s24, v7
	v_add_nc_u32_e32 v8, 1, v4
	v_cndmask_b32_e32 v36, v4, v8, vcc_lo
.LBB0_6:                                ;   in Loop: Header=BB0_2 Depth=1
	s_or_b32 exec_lo, exec_lo, s0
	v_mul_lo_u32 v4, v37, s24
	v_mul_lo_u32 v9, v36, s25
	s_load_dwordx2 s[0:1], s[6:7], 0x0
	v_mad_u64_u32 v[7:8], null, v36, s24, 0
	s_load_dwordx2 s[24:25], s[2:3], 0x0
	s_add_u32 s22, s22, 1
	s_addc_u32 s23, s23, 0
	s_add_u32 s2, s2, 8
	s_addc_u32 s3, s3, 0
	s_add_u32 s6, s6, 8
	v_add3_u32 v4, v8, v9, v4
	v_sub_co_u32 v5, vcc_lo, v5, v7
	s_addc_u32 s7, s7, 0
	s_add_u32 s20, s20, 8
	v_sub_co_ci_u32_e32 v4, vcc_lo, v6, v4, vcc_lo
	s_addc_u32 s21, s21, 0
	s_waitcnt lgkmcnt(0)
	v_mul_lo_u32 v6, s0, v4
	v_mul_lo_u32 v7, s1, v5
	v_mad_u64_u32 v[1:2], null, s0, v5, v[1:2]
	v_mul_lo_u32 v4, s24, v4
	v_mul_lo_u32 v8, s25, v5
	v_mad_u64_u32 v[32:33], null, s24, v5, v[32:33]
	v_cmp_ge_u64_e64 s0, s[22:23], s[14:15]
	v_add3_u32 v2, v7, v2, v6
	v_add3_u32 v33, v8, v33, v4
	s_and_b32 vcc_lo, exec_lo, s0
	s_cbranch_vccnz .LBB0_9
; %bb.7:                                ;   in Loop: Header=BB0_2 Depth=1
	v_mov_b32_e32 v5, v36
	v_mov_b32_e32 v6, v37
	s_branch .LBB0_2
.LBB0_8:
	v_mov_b32_e32 v33, v2
	v_mov_b32_e32 v37, v6
	;; [unrolled: 1-line block ×4, first 2 shown]
.LBB0_9:
	s_load_dwordx2 s[0:1], s[4:5], 0x28
	v_mul_hi_u32 v3, 0x5050506, v0
	s_lshl_b64 s[4:5], s[14:15], 3
                                        ; implicit-def: $vgpr34
	s_add_u32 s2, s18, s4
	s_addc_u32 s3, s19, s5
	s_waitcnt lgkmcnt(0)
	v_cmp_gt_u64_e32 vcc_lo, s[0:1], v[36:37]
	v_cmp_le_u64_e64 s0, s[0:1], v[36:37]
	s_and_saveexec_b32 s1, s0
	s_xor_b32 s0, exec_lo, s1
; %bb.10:
	v_mul_u32_u24_e32 v1, 51, v3
                                        ; implicit-def: $vgpr3
	v_sub_nc_u32_e32 v34, v0, v1
                                        ; implicit-def: $vgpr0
                                        ; implicit-def: $vgpr1_vgpr2
; %bb.11:
	s_andn2_saveexec_b32 s1, s0
	s_cbranch_execz .LBB0_13
; %bb.12:
	s_add_u32 s4, s16, s4
	s_addc_u32 s5, s17, s5
	v_lshlrev_b64 v[1:2], 3, v[1:2]
	s_load_dwordx2 s[4:5], s[4:5], 0x0
	s_waitcnt lgkmcnt(0)
	v_mul_lo_u32 v6, s5, v36
	v_mul_lo_u32 v7, s4, v37
	v_mad_u64_u32 v[4:5], null, s4, v36, 0
	v_add3_u32 v5, v5, v7, v6
	v_mul_u32_u24_e32 v6, 51, v3
	v_lshlrev_b64 v[3:4], 3, v[4:5]
	v_sub_nc_u32_e32 v34, v0, v6
	v_lshlrev_b32_e32 v35, 3, v34
	v_add_co_u32 v0, s0, s8, v3
	v_add_co_ci_u32_e64 v3, s0, s9, v4, s0
	v_add_co_u32 v0, s0, v0, v1
	v_add_co_ci_u32_e64 v1, s0, v3, v2, s0
	;; [unrolled: 2-line block ×3, first 2 shown]
	s_clause 0x3
	global_load_dwordx2 v[2:3], v[0:1], off
	global_load_dwordx2 v[4:5], v[0:1], off offset:408
	global_load_dwordx2 v[6:7], v[0:1], off offset:816
	;; [unrolled: 1-line block ×3, first 2 shown]
	v_add_co_u32 v10, s0, 0x800, v0
	v_add_co_ci_u32_e64 v11, s0, 0, v1, s0
	v_add_co_u32 v12, s0, 0x1000, v0
	v_add_co_ci_u32_e64 v13, s0, 0, v1, s0
	s_clause 0xb
	global_load_dwordx2 v[14:15], v[0:1], off offset:1632
	global_load_dwordx2 v[0:1], v[0:1], off offset:2040
	global_load_dwordx2 v[16:17], v[10:11], off offset:400
	global_load_dwordx2 v[18:19], v[10:11], off offset:808
	global_load_dwordx2 v[20:21], v[10:11], off offset:1216
	global_load_dwordx2 v[22:23], v[10:11], off offset:1624
	global_load_dwordx2 v[10:11], v[10:11], off offset:2032
	global_load_dwordx2 v[24:25], v[12:13], off offset:392
	global_load_dwordx2 v[26:27], v[12:13], off offset:800
	global_load_dwordx2 v[28:29], v[12:13], off offset:1208
	global_load_dwordx2 v[30:31], v[12:13], off offset:1616
	global_load_dwordx2 v[12:13], v[12:13], off offset:2024
	v_add_nc_u32_e32 v35, 0, v35
	v_add_nc_u32_e32 v38, 0x800, v35
	;; [unrolled: 1-line block ×4, first 2 shown]
	s_waitcnt vmcnt(14)
	ds_write2_b64 v35, v[2:3], v[4:5] offset1:51
	s_waitcnt vmcnt(12)
	ds_write2_b64 v35, v[6:7], v[8:9] offset0:102 offset1:153
	s_waitcnt vmcnt(10)
	ds_write2_b64 v35, v[14:15], v[0:1] offset0:204 offset1:255
	;; [unrolled: 2-line block ×7, first 2 shown]
.LBB0_13:
	s_or_b32 exec_lo, exec_lo, s1
	v_lshl_add_u32 v44, v34, 3, 0
	s_waitcnt lgkmcnt(0)
	s_barrier
	buffer_gl0_inv
	s_mov_b32 s1, exec_lo
	ds_read2_b64 v[0:3], v44 offset1:48
	ds_read_b64 v[40:41], v44 offset:6144
	v_add_nc_u32_e32 v35, 0x1000, v44
	v_add_nc_u32_e32 v42, 0x800, v44
	;; [unrolled: 1-line block ×3, first 2 shown]
	ds_read2_b64 v[16:19], v44 offset0:96 offset1:144
	ds_read2_b64 v[4:7], v35 offset0:160 offset1:208
	;; [unrolled: 1-line block ×6, first 2 shown]
	s_waitcnt lgkmcnt(6)
	v_sub_f32_e32 v79, v3, v41
	v_sub_f32_e32 v87, v2, v40
	v_add_f32_e32 v50, v40, v2
	s_waitcnt lgkmcnt(4)
	v_sub_f32_e32 v82, v17, v7
	v_add_f32_e32 v54, v41, v3
	v_mul_f32_e32 v61, 0xbeb8f4ab, v79
	v_mul_f32_e32 v70, 0xbeb8f4ab, v87
	v_add_f32_e32 v48, v6, v16
	v_sub_f32_e32 v84, v16, v6
	v_sub_f32_e32 v80, v19, v5
	v_fmamk_f32 v28, v50, 0x3f6eb680, v61
	v_mul_f32_e32 v66, 0xbf2c7751, v82
	v_add_f32_e32 v51, v7, v17
	v_add_f32_e32 v46, v4, v18
	v_sub_f32_e32 v83, v18, v4
	s_waitcnt lgkmcnt(2)
	v_sub_f32_e32 v78, v13, v11
	v_fma_f32 v29, 0x3f6eb680, v54, -v70
	v_mul_f32_e32 v74, 0xbf2c7751, v84
	v_mul_f32_e32 v63, 0xbf65296c, v80
	v_add_f32_e32 v28, v0, v28
	v_fmamk_f32 v30, v48, 0x3f3d2fb0, v66
	v_add_f32_e32 v49, v5, v19
	v_add_f32_e32 v45, v10, v12
	v_mul_f32_e32 v68, 0xbf65296c, v83
	v_mul_f32_e32 v62, 0xbf7ee86f, v78
	v_add_f32_e32 v29, v1, v29
	v_fma_f32 v31, 0x3f3d2fb0, v51, -v74
	v_fmamk_f32 v38, v46, 0x3ee437d1, v63
	v_add_f32_e32 v28, v30, v28
	v_fma_f32 v39, 0x3ee437d1, v49, -v68
	v_fmamk_f32 v30, v45, 0x3dbcf732, v62
	v_add_f32_e32 v29, v31, v29
	v_sub_f32_e32 v81, v12, v10
	v_add_f32_e32 v28, v38, v28
	v_sub_f32_e32 v85, v15, v9
	v_add_f32_e32 v47, v11, v13
	v_add_f32_e32 v38, v39, v29
	v_sub_f32_e32 v77, v14, v8
	v_add_f32_e32 v39, v30, v28
	ds_read2_b64 v[28:31], v42 offset0:128 offset1:176
	v_mul_f32_e32 v69, 0xbf7ee86f, v81
	v_add_f32_e32 v52, v8, v14
	v_mul_f32_e32 v64, 0xbf763a35, v85
	s_waitcnt lgkmcnt(1)
	v_sub_f32_e32 v86, v25, v23
	v_add_f32_e32 v53, v9, v15
	v_fma_f32 v56, 0x3dbcf732, v47, -v69
	v_mul_f32_e32 v71, 0xbf763a35, v77
	v_fmamk_f32 v57, v52, 0xbe8c1d8e, v64
	v_add_f32_e32 v55, v22, v24
	v_mul_f32_e32 v72, 0xbf4c4adb, v86
	v_sub_f32_e32 v90, v24, v22
	v_add_f32_e32 v38, v56, v38
	v_fma_f32 v56, 0xbe8c1d8e, v53, -v71
	v_add_f32_e32 v39, v57, v39
	v_fmamk_f32 v58, v55, 0xbf1a4643, v72
	v_add_f32_e32 v57, v23, v25
	v_mul_f32_e32 v76, 0xbf4c4adb, v90
	v_sub_f32_e32 v89, v27, v21
	v_sub_f32_e32 v91, v26, v20
	v_add_f32_e32 v38, v56, v38
	v_add_f32_e32 v39, v58, v39
	v_fma_f32 v59, 0xbf1a4643, v57, -v76
	v_add_f32_e32 v56, v20, v26
	v_mul_f32_e32 v65, 0xbf06c442, v89
	v_add_f32_e32 v58, v21, v27
	v_mul_f32_e32 v75, 0xbf06c442, v91
	s_waitcnt lgkmcnt(0)
	v_sub_f32_e32 v88, v29, v31
	v_sub_f32_e32 v92, v28, v30
	v_add_f32_e32 v38, v59, v38
	v_fmamk_f32 v93, v56, 0xbf59a7d5, v65
	v_fma_f32 v94, 0xbf59a7d5, v58, -v75
	v_add_f32_e32 v59, v30, v28
	v_mul_f32_e32 v67, 0xbe3c28d5, v88
	v_add_f32_e32 v60, v31, v29
	v_mul_f32_e32 v73, 0xbe3c28d5, v92
	v_add_f32_e32 v39, v93, v39
	v_add_f32_e32 v93, v94, v38
	v_fmamk_f32 v38, v59, 0xbf7ba420, v67
	v_fma_f32 v94, 0xbf7ba420, v60, -v73
	s_barrier
	buffer_gl0_inv
	v_add_f32_e32 v38, v38, v39
	v_add_f32_e32 v39, v94, v93
	v_cmpx_gt_u32_e32 48, v34
	s_cbranch_execz .LBB0_15
; %bb.14:
	v_add_f32_e32 v3, v1, v3
	v_add_f32_e32 v2, v0, v2
	v_mul_f32_e32 v97, 0xbe3c28d5, v87
	v_mul_f32_e32 v96, 0x3eb8f4ab, v84
	;; [unrolled: 1-line block ×3, first 2 shown]
	v_add_f32_e32 v3, v3, v17
	v_add_f32_e32 v2, v2, v16
	v_fmamk_f32 v94, v54, 0xbf7ba420, v97
	v_fmamk_f32 v16, v51, 0x3f6eb680, v96
	v_mul_f32_e32 v93, 0x3f2c7751, v81
	v_add_f32_e32 v3, v3, v19
	v_add_f32_e32 v2, v2, v18
	v_add_f32_e32 v17, v1, v94
	v_fmamk_f32 v98, v49, 0xbf59a7d5, v95
	v_mul_f32_e32 v99, 0xbe3c28d5, v79
	v_add_f32_e32 v3, v3, v13
	v_add_f32_e32 v2, v2, v12
	;; [unrolled: 1-line block ×3, first 2 shown]
	v_mul_f32_e32 v94, 0xbf4c4adb, v77
	v_fmamk_f32 v17, v47, 0x3f3d2fb0, v93
	v_add_f32_e32 v3, v3, v15
	v_add_f32_e32 v2, v2, v14
	;; [unrolled: 1-line block ×3, first 2 shown]
	v_fma_f32 v14, 0xbf7ba420, v50, -v99
	v_mul_f32_e32 v100, 0x3eb8f4ab, v82
	v_add_f32_e32 v3, v3, v25
	v_add_f32_e32 v2, v2, v24
	v_fmamk_f32 v13, v53, 0xbf1a4643, v94
	v_add_f32_e32 v12, v17, v12
	v_add_f32_e32 v14, v0, v14
	v_fma_f32 v16, 0x3f6eb680, v48, -v100
	v_mul_f32_e32 v101, 0xbf06c442, v80
	v_add_f32_e32 v3, v3, v27
	v_add_f32_e32 v2, v2, v26
	v_mul_f32_e32 v19, 0x3f65296c, v90
	v_add_f32_e32 v12, v13, v12
	v_add_f32_e32 v13, v16, v14
	v_fma_f32 v14, 0xbf59a7d5, v46, -v101
	v_mul_f32_e32 v104, 0x3f2c7751, v78
	v_add_f32_e32 v3, v3, v29
	v_add_f32_e32 v2, v2, v28
	v_fmamk_f32 v15, v57, 0x3ee437d1, v19
	v_mul_f32_e32 v24, 0xbf763a35, v91
	v_add_f32_e32 v13, v14, v13
	v_fma_f32 v14, 0x3f3d2fb0, v45, -v104
	v_mul_f32_e32 v27, 0xbf4c4adb, v85
	v_add_f32_e32 v3, v3, v31
	v_add_f32_e32 v2, v2, v30
	v_add_f32_e32 v12, v15, v12
	v_fmamk_f32 v15, v58, 0xbe8c1d8e, v24
	v_add_f32_e32 v13, v14, v13
	v_fma_f32 v14, 0xbf1a4643, v52, -v27
	v_mul_f32_e32 v25, 0x3f65296c, v86
	v_mul_f32_e32 v102, 0xbf06c442, v87
	v_add_f32_e32 v3, v3, v21
	v_add_f32_e32 v2, v2, v20
	v_add_f32_e32 v12, v15, v12
	v_add_f32_e32 v13, v14, v13
	v_fma_f32 v14, 0x3ee437d1, v55, -v25
	v_fmamk_f32 v15, v54, 0xbf59a7d5, v102
	v_mul_f32_e32 v103, 0x3f65296c, v84
	v_add_f32_e32 v3, v3, v23
	v_add_f32_e32 v2, v2, v22
	v_mul_f32_e32 v22, 0xbf763a35, v89
	v_mul_f32_e32 v21, 0x3f7ee86f, v92
	v_add_f32_e32 v13, v14, v13
	v_add_f32_e32 v14, v1, v15
	v_fmamk_f32 v15, v51, 0x3ee437d1, v103
	v_fma_f32 v16, 0xbe8c1d8e, v56, -v22
	v_add_f32_e32 v3, v3, v9
	v_add_f32_e32 v2, v2, v8
	v_mul_f32_e32 v31, 0xbf7ee86f, v83
	v_mul_f32_e32 v18, 0x3f7ee86f, v88
	;; [unrolled: 1-line block ×3, first 2 shown]
	v_add_f32_e32 v8, v15, v14
	v_add_f32_e32 v9, v3, v11
	;; [unrolled: 1-line block ×3, first 2 shown]
	v_fmamk_f32 v2, v49, 0x3dbcf732, v31
	v_fmamk_f32 v3, v60, 0x3dbcf732, v21
	v_add_f32_e32 v11, v16, v13
	v_fma_f32 v13, 0x3dbcf732, v59, -v18
	v_fma_f32 v15, 0xbf59a7d5, v50, -v113
	v_mul_f32_e32 v115, 0x3f65296c, v82
	v_mul_f32_e32 v29, 0x3f4c4adb, v81
	v_add_f32_e32 v8, v2, v8
	v_add_f32_e32 v3, v3, v12
	;; [unrolled: 1-line block ×4, first 2 shown]
	v_fma_f32 v12, 0x3ee437d1, v48, -v115
	v_mul_f32_e32 v116, 0xbf7ee86f, v80
	v_fmamk_f32 v14, v47, 0xbf1a4643, v29
	v_mul_f32_e32 v114, 0xbeb8f4ab, v77
	v_add_f32_e32 v5, v9, v5
	v_add_f32_e32 v9, v12, v11
	v_fma_f32 v11, 0x3dbcf732, v46, -v116
	v_mul_f32_e32 v105, 0x3f4c4adb, v78
	v_add_f32_e32 v8, v14, v8
	v_fmamk_f32 v13, v53, 0x3f6eb680, v114
	v_add_f32_e32 v4, v10, v4
	v_mul_f32_e32 v109, 0xbe3c28d5, v90
	v_add_f32_e32 v9, v11, v9
	v_fma_f32 v10, 0xbf1a4643, v45, -v105
	v_mul_f32_e32 v107, 0xbeb8f4ab, v85
	v_add_f32_e32 v8, v13, v8
	v_add_f32_e32 v5, v5, v7
	v_add_f32_e32 v4, v4, v6
	v_fmamk_f32 v6, v57, 0xbf7ba420, v109
	v_add_f32_e32 v7, v10, v9
	v_fma_f32 v9, 0x3f6eb680, v52, -v107
	v_mul_f32_e32 v98, 0xbe3c28d5, v86
	v_mul_f32_e32 v112, 0x3f2c7751, v91
	;; [unrolled: 1-line block ×3, first 2 shown]
	v_add_f32_e32 v6, v6, v8
	v_add_f32_e32 v7, v9, v7
	v_fma_f32 v9, 0xbf7ba420, v55, -v98
	v_fmamk_f32 v8, v58, 0x3f3d2fb0, v112
	v_mul_f32_e32 v28, 0xbf763a35, v92
	v_mul_f32_e32 v20, 0xbf763a35, v88
	;; [unrolled: 1-line block ×3, first 2 shown]
	v_add_f32_e32 v7, v9, v7
	v_fma_f32 v9, 0x3f3d2fb0, v56, -v30
	v_add_f32_e32 v6, v8, v6
	v_fmamk_f32 v8, v60, 0xbe8c1d8e, v28
	v_fma_f32 v10, 0xbe8c1d8e, v59, -v20
	v_mul_f32_e32 v120, 0xbf4c4adb, v79
	v_add_f32_e32 v9, v9, v7
	v_mul_f32_e32 v143, 0x3f763a35, v84
	v_add_f32_e32 v7, v8, v6
	v_fmamk_f32 v8, v54, 0xbf1a4643, v123
	v_mul_f32_e32 v121, 0x3f763a35, v82
	v_add_f32_e32 v6, v10, v9
	v_fma_f32 v9, 0xbf1a4643, v50, -v120
	v_fmamk_f32 v10, v51, 0xbe8c1d8e, v143
	v_add_f32_e32 v8, v1, v8
	v_mul_f32_e32 v145, 0xbeb8f4ab, v83
	v_fma_f32 v11, 0xbe8c1d8e, v48, -v121
	v_add_f32_e32 v9, v0, v9
	v_mul_f32_e32 v122, 0xbeb8f4ab, v80
	v_add_f32_e32 v8, v10, v8
	v_fmamk_f32 v10, v49, 0x3f6eb680, v145
	v_mul_f32_e32 v125, 0xbf06c442, v81
	v_add_f32_e32 v9, v11, v9
	v_fma_f32 v11, 0x3f6eb680, v46, -v122
	v_mul_f32_e32 v117, 0xbf06c442, v78
	v_add_f32_e32 v8, v10, v8
	v_fmamk_f32 v10, v47, 0xbf59a7d5, v125
	v_mul_f32_e32 v126, 0x3f7ee86f, v77
	v_add_f32_e32 v9, v11, v9
	v_fma_f32 v11, 0xbf59a7d5, v45, -v117
	;; [unrolled: 6-line block ×11, first 2 shown]
	v_mul_f32_e32 v118, 0x3f7ee86f, v86
	v_add_f32_e32 v10, v12, v10
	v_fmamk_f32 v12, v57, 0x3dbcf732, v150
	v_mul_f32_e32 v132, 0xbeb8f4ab, v91
	v_add_f32_e32 v5, v5, v41
	v_add_f32_e32 v4, v4, v40
	;; [unrolled: 1-line block ×3, first 2 shown]
	v_fma_f32 v13, 0x3dbcf732, v55, -v118
	v_mul_f32_e32 v40, 0xbeb8f4ab, v89
	v_add_f32_e32 v10, v12, v10
	v_fmamk_f32 v12, v58, 0x3f6eb680, v132
	v_mul_f32_e32 v41, 0xbf4c4adb, v92
	v_mul_f32_e32 v155, 0xbf7ee86f, v87
	v_add_f32_e32 v11, v13, v11
	v_fma_f32 v13, 0x3f6eb680, v56, -v40
	v_add_f32_e32 v10, v12, v10
	v_fmamk_f32 v12, v60, 0xbf1a4643, v41
	v_mul_f32_e32 v26, 0xbf4c4adb, v88
	v_fmamk_f32 v14, v54, 0x3dbcf732, v155
	v_mul_f32_e32 v156, 0xbf7ee86f, v79
	v_mul_f32_e32 v164, 0xbe3c28d5, v84
	v_add_f32_e32 v13, v13, v11
	v_add_f32_e32 v11, v12, v10
	v_fma_f32 v10, 0xbf1a4643, v59, -v26
	v_add_f32_e32 v12, v1, v14
	v_fma_f32 v14, 0x3dbcf732, v50, -v156
	v_mul_f32_e32 v134, 0xbe3c28d5, v82
	v_fmamk_f32 v15, v51, 0xbf7ba420, v164
	v_mul_f32_e32 v163, 0x3f763a35, v83
	v_add_f32_e32 v10, v10, v13
	v_add_f32_e32 v13, v0, v14
	v_fma_f32 v14, 0xbf7ba420, v48, -v134
	v_mul_f32_e32 v144, 0x3f763a35, v80
	v_add_f32_e32 v12, v15, v12
	v_fmamk_f32 v15, v49, 0xbe8c1d8e, v163
	v_mul_f32_e32 v154, 0x3eb8f4ab, v81
	v_add_f32_e32 v13, v14, v13
	v_fma_f32 v14, 0xbe8c1d8e, v46, -v144
	v_mul_f32_e32 v146, 0x3eb8f4ab, v78
	v_add_f32_e32 v12, v15, v12
	v_fmamk_f32 v15, v47, 0x3f6eb680, v154
	v_mul_f32_e32 v159, 0xbf65296c, v77
	;; [unrolled: 6-line block ×22, first 2 shown]
	v_add_f32_e32 v90, v90, v17
	v_add_f32_e32 v70, v70, v92
	v_fmac_f32_e32 v99, 0xbf7ba420, v50
	v_add_f32_e32 v17, v91, v16
	v_add_f32_e32 v16, v74, v176
	v_mul_f32_e32 v74, 0x3f6eb680, v50
	v_add_f32_e32 v70, v1, v70
	v_mul_f32_e32 v91, 0x3ee437d1, v49
	v_mul_f32_e32 v176, 0x3f3d2fb0, v48
	v_fmac_f32_e32 v100, 0x3f6eb680, v48
	v_sub_f32_e32 v61, v74, v61
	v_add_f32_e32 v16, v16, v70
	v_add_f32_e32 v68, v68, v91
	v_mul_f32_e32 v70, 0x3dbcf732, v47
	v_sub_f32_e32 v66, v176, v66
	v_add_f32_e32 v61, v0, v61
	v_mul_f32_e32 v74, 0x3ee437d1, v46
	v_add_f32_e32 v16, v68, v16
	v_add_f32_e32 v68, v69, v70
	v_mul_f32_e32 v69, 0xbe8c1d8e, v53
	v_add_f32_e32 v61, v66, v61
	v_sub_f32_e32 v63, v74, v63
	v_mul_f32_e32 v66, 0x3dbcf732, v45
	v_add_f32_e32 v68, v68, v16
	v_add_f32_e32 v69, v71, v69
	v_mul_f32_e32 v70, 0xbf1a4643, v57
	v_add_f32_e32 v61, v63, v61
	v_sub_f32_e32 v62, v66, v62
	v_mul_f32_e32 v63, 0xbe8c1d8e, v52
	v_add_f32_e32 v66, v69, v68
	v_add_f32_e32 v68, v76, v70
	v_fma_f32 v69, 0xbf7ba420, v54, -v97
	v_add_f32_e32 v61, v62, v61
	v_mul_f32_e32 v62, 0xbf59a7d5, v58
	v_sub_f32_e32 v63, v63, v64
	v_mul_f32_e32 v64, 0xbf1a4643, v55
	v_add_f32_e32 v66, v68, v66
	v_fma_f32 v68, 0x3f6eb680, v51, -v96
	v_add_f32_e32 v62, v75, v62
	v_add_f32_e32 v61, v63, v61
	v_sub_f32_e32 v63, v64, v72
	v_add_f32_e32 v64, v1, v69
	v_fmac_f32_e32 v101, 0xbf59a7d5, v46
	v_add_f32_e32 v62, v62, v66
	v_fma_f32 v66, 0xbf59a7d5, v49, -v95
	v_add_f32_e32 v61, v63, v61
	v_mul_f32_e32 v63, 0xbf59a7d5, v56
	v_add_f32_e32 v64, v68, v64
	v_add_f32_e32 v68, v0, v99
	v_mul_f32_e32 v69, 0xbf7ba420, v59
	v_fmac_f32_e32 v104, 0x3f3d2fb0, v45
	v_sub_f32_e32 v63, v63, v65
	v_mul_f32_e32 v65, 0xbf7ba420, v60
	v_add_f32_e32 v64, v66, v64
	v_fma_f32 v66, 0x3f3d2fb0, v47, -v93
	v_add_f32_e32 v68, v100, v68
	v_add_f32_e32 v61, v63, v61
	;; [unrolled: 1-line block ×3, first 2 shown]
	v_sub_f32_e32 v63, v69, v67
	v_add_f32_e32 v64, v66, v64
	v_fma_f32 v66, 0xbf1a4643, v53, -v94
	v_add_f32_e32 v68, v101, v68
	v_fma_f32 v19, 0x3ee437d1, v57, -v19
	v_fmac_f32_e32 v27, 0xbf1a4643, v52
	v_add_f32_e32 v62, v65, v62
	v_add_f32_e32 v64, v66, v64
	;; [unrolled: 1-line block ×3, first 2 shown]
	v_fma_f32 v65, 0xbf59a7d5, v54, -v102
	v_add_f32_e32 v61, v63, v61
	v_fmac_f32_e32 v25, 0x3ee437d1, v55
	v_add_f32_e32 v19, v19, v64
	v_add_f32_e32 v27, v27, v66
	;; [unrolled: 1-line block ×3, first 2 shown]
	v_fma_f32 v64, 0x3ee437d1, v51, -v103
	v_fma_f32 v24, 0xbe8c1d8e, v58, -v24
	v_fmac_f32_e32 v113, 0xbf59a7d5, v50
	v_add_f32_e32 v25, v25, v27
	v_fmac_f32_e32 v22, 0xbe8c1d8e, v56
	v_add_f32_e32 v27, v64, v63
	v_fma_f32 v31, 0x3dbcf732, v49, -v31
	v_add_f32_e32 v63, v0, v113
	v_fmac_f32_e32 v115, 0x3ee437d1, v48
	v_add_f32_e32 v19, v24, v19
	v_add_f32_e32 v22, v22, v25
	;; [unrolled: 1-line block ×3, first 2 shown]
	v_fma_f32 v25, 0xbf1a4643, v47, -v29
	v_fma_f32 v21, 0x3dbcf732, v60, -v21
	v_add_f32_e32 v27, v115, v63
	v_fmac_f32_e32 v116, 0x3dbcf732, v46
	v_fmac_f32_e32 v18, 0x3dbcf732, v59
	v_add_f32_e32 v24, v25, v24
	v_fma_f32 v25, 0x3f6eb680, v53, -v114
	v_add_f32_e32 v19, v21, v19
	v_fma_f32 v21, 0xbf1a4643, v54, -v123
	v_add_f32_e32 v27, v116, v27
	v_fmac_f32_e32 v105, 0xbf1a4643, v45
	v_add_f32_e32 v24, v25, v24
	v_fma_f32 v25, 0xbf7ba420, v57, -v109
	v_add_f32_e32 v21, v1, v21
	v_fma_f32 v29, 0xbe8c1d8e, v51, -v143
	v_add_f32_e32 v27, v105, v27
	v_fmac_f32_e32 v107, 0x3f6eb680, v52
	v_add_f32_e32 v18, v18, v22
	v_add_f32_e32 v22, v25, v24
	;; [unrolled: 1-line block ×3, first 2 shown]
	v_fma_f32 v25, 0x3f6eb680, v49, -v145
	v_fmac_f32_e32 v120, 0xbf1a4643, v50
	v_add_f32_e32 v24, v107, v27
	v_fmac_f32_e32 v98, 0xbf7ba420, v55
	v_fma_f32 v27, 0x3f3d2fb0, v58, -v112
	v_add_f32_e32 v21, v25, v21
	v_fma_f32 v25, 0xbf59a7d5, v47, -v125
	v_add_f32_e32 v29, v0, v120
	v_fmac_f32_e32 v121, 0xbe8c1d8e, v48
	v_add_f32_e32 v24, v98, v24
	v_fmac_f32_e32 v30, 0x3f3d2fb0, v56
	v_add_f32_e32 v22, v27, v22
	v_add_f32_e32 v21, v25, v21
	v_fma_f32 v25, 0x3dbcf732, v53, -v126
	v_add_f32_e32 v27, v121, v29
	v_fmac_f32_e32 v122, 0x3f6eb680, v46
	v_fma_f32 v28, 0xbe8c1d8e, v60, -v28
	v_add_f32_e32 v24, v30, v24
	v_fmac_f32_e32 v20, 0xbe8c1d8e, v59
	v_add_f32_e32 v25, v25, v21
	v_fma_f32 v29, 0x3f3d2fb0, v57, -v127
	v_add_f32_e32 v27, v122, v27
	v_fmac_f32_e32 v117, 0xbf59a7d5, v45
	v_add_f32_e32 v21, v28, v22
	v_fma_f32 v22, 0xbe8c1d8e, v54, -v133
	v_add_f32_e32 v20, v20, v24
	v_add_f32_e32 v24, v29, v25
	;; [unrolled: 1-line block ×3, first 2 shown]
	v_fma_f32 v27, 0xbf59a7d5, v51, -v160
	v_add_f32_e32 v22, v1, v22
	v_fmac_f32_e32 v128, 0xbe8c1d8e, v50
	v_fmac_f32_e32 v129, 0xbf59a7d5, v48
	;; [unrolled: 1-line block ×3, first 2 shown]
	v_fma_f32 v28, 0xbf7ba420, v58, -v119
	v_add_f32_e32 v22, v27, v22
	v_fma_f32 v27, 0x3f3d2fb0, v49, -v147
	v_add_f32_e32 v29, v0, v128
	v_fmac_f32_e32 v130, 0x3f3d2fb0, v46
	v_add_f32_e32 v25, v110, v25
	v_fmac_f32_e32 v111, 0x3f3d2fb0, v55
	v_add_f32_e32 v22, v27, v22
	v_fma_f32 v27, 0x3ee437d1, v47, -v148
	v_add_f32_e32 v29, v129, v29
	v_add_f32_e32 v24, v28, v24
	v_fmac_f32_e32 v131, 0x3ee437d1, v45
	v_add_f32_e32 v25, v111, v25
	v_add_f32_e32 v22, v27, v22
	v_fma_f32 v27, 0xbf7ba420, v53, -v149
	v_add_f32_e32 v28, v130, v29
	v_fma_f32 v29, 0x3ee437d1, v60, -v106
	v_fmac_f32_e32 v108, 0xbf7ba420, v56
	v_fmac_f32_e32 v124, 0xbf7ba420, v52
	v_add_f32_e32 v22, v27, v22
	v_fma_f32 v27, 0x3dbcf732, v57, -v150
	v_add_f32_e32 v28, v131, v28
	v_add_f32_e32 v24, v29, v24
	v_fma_f32 v29, 0x3dbcf732, v54, -v155
	v_add_f32_e32 v25, v108, v25
	v_fmac_f32_e32 v23, 0x3ee437d1, v59
	v_add_f32_e32 v22, v27, v22
	v_fma_f32 v27, 0x3f6eb680, v58, -v132
	v_add_f32_e32 v28, v124, v28
	v_fmac_f32_e32 v118, 0x3dbcf732, v55
	v_add_f32_e32 v29, v1, v29
	v_fma_f32 v30, 0xbf7ba420, v51, -v164
	v_fmac_f32_e32 v156, 0x3dbcf732, v50
	v_add_f32_e32 v23, v23, v25
	v_add_f32_e32 v22, v27, v22
	;; [unrolled: 1-line block ×4, first 2 shown]
	v_fma_f32 v28, 0xbe8c1d8e, v49, -v163
	v_add_f32_e32 v29, v0, v156
	v_fmac_f32_e32 v134, 0xbf7ba420, v48
	v_fma_f32 v30, 0x3ee437d1, v54, -v166
	v_fmac_f32_e32 v144, 0xbe8c1d8e, v46
	v_add_f32_e32 v27, v28, v27
	v_fma_f32 v28, 0x3f6eb680, v47, -v154
	v_add_f32_e32 v29, v134, v29
	v_add_f32_e32 v30, v1, v30
	v_fma_f32 v31, 0xbf1a4643, v51, -v171
	v_fmac_f32_e32 v146, 0x3f6eb680, v45
	v_add_f32_e32 v27, v28, v27
	v_fma_f32 v28, 0x3ee437d1, v53, -v159
	v_add_f32_e32 v29, v144, v29
	v_add_f32_e32 v30, v31, v30
	v_fma_f32 v31, 0xbf7ba420, v49, -v172
	v_fmac_f32_e32 v40, 0x3f6eb680, v56
	v_add_f32_e32 v28, v28, v27
	v_add_f32_e32 v29, v146, v29
	v_fmac_f32_e32 v151, 0x3ee437d1, v52
	v_add_f32_e32 v30, v31, v30
	v_fma_f32 v31, 0xbf59a7d5, v57, -v152
	v_add_f32_e32 v25, v40, v25
	v_fmac_f32_e32 v26, 0xbf1a4643, v59
	v_add_f32_e32 v29, v151, v29
	v_fmac_f32_e32 v153, 0xbf59a7d5, v55
	v_add_f32_e32 v28, v31, v28
	v_fma_f32 v31, 0xbf1a4643, v58, -v158
	v_fma_f32 v40, 0xbf1a4643, v60, -v41
	v_fmac_f32_e32 v157, 0xbf1a4643, v56
	v_add_f32_e32 v29, v153, v29
	v_add_f32_e32 v26, v26, v25
	;; [unrolled: 1-line block ×3, first 2 shown]
	v_fma_f32 v31, 0x3f3d2fb0, v60, -v162
	v_fmac_f32_e32 v135, 0x3ee437d1, v50
	v_fma_f32 v25, 0x3f3d2fb0, v54, -v87
	v_fmac_f32_e32 v79, 0x3f3d2fb0, v50
	v_add_f32_e32 v27, v40, v22
	v_add_f32_e32 v40, v157, v29
	;; [unrolled: 1-line block ×4, first 2 shown]
	v_fmac_f32_e32 v136, 0xbf1a4643, v48
	v_add_f32_e32 v1, v1, v25
	v_fma_f32 v25, 0x3dbcf732, v51, -v84
	v_add_f32_e32 v0, v0, v79
	v_fmac_f32_e32 v82, 0x3dbcf732, v48
	v_add_f32_e32 v31, v136, v31
	v_fmac_f32_e32 v137, 0xbf7ba420, v46
	v_add_f32_e32 v1, v25, v1
	v_fma_f32 v25, 0xbf1a4643, v49, -v167
	v_add_f32_e32 v0, v82, v0
	v_fmac_f32_e32 v80, 0xbf1a4643, v46
	v_fma_f32 v22, 0xbe8c1d8e, v47, -v170
	v_add_f32_e32 v31, v137, v31
	v_fmac_f32_e32 v138, 0xbe8c1d8e, v45
	v_add_f32_e32 v1, v25, v1
	v_fma_f32 v25, 0xbf7ba420, v47, -v168
	v_add_f32_e32 v0, v80, v0
	v_fmac_f32_e32 v78, 0xbf7ba420, v45
	v_add_f32_e32 v22, v22, v30
	;; [unrolled: 4-line block ×5, first 2 shown]
	v_fma_f32 v25, 0xbe8c1d8e, v57, -v85
	v_add_f32_e32 v0, v77, v0
	v_fmac_f32_e32 v81, 0xbe8c1d8e, v55
	v_mul_f32_e32 v88, 0x3eb8f4ab, v88
	v_fmac_f32_e32 v161, 0x3f3d2fb0, v59
	v_add_f32_e32 v22, v30, v22
	v_fma_f32 v30, 0x3dbcf732, v58, -v175
	v_add_f32_e32 v31, v140, v31
	v_fmac_f32_e32 v141, 0x3dbcf732, v56
	v_add_f32_e32 v1, v25, v1
	v_fma_f32 v25, 0x3ee437d1, v58, -v86
	v_add_f32_e32 v0, v81, v0
	v_fmac_f32_e32 v83, 0x3ee437d1, v56
	v_fma_f32 v92, 0x3f6eb680, v59, -v88
	v_add_f32_e32 v28, v161, v40
	v_add_f32_e32 v22, v30, v22
	v_fma_f32 v30, 0xbf59a7d5, v60, -v165
	v_add_f32_e32 v31, v141, v31
	v_fmac_f32_e32 v142, 0xbf59a7d5, v59
	v_add_f32_e32 v25, v25, v1
	v_fma_f32 v40, 0x3f6eb680, v60, -v89
	v_add_f32_e32 v41, v83, v0
	v_fmac_f32_e32 v88, 0x3f6eb680, v59
	v_lshl_add_u32 v45, v34, 7, v44
	v_add_f32_e32 v16, v92, v90
	v_add_f32_e32 v1, v30, v22
	;; [unrolled: 1-line block ×5, first 2 shown]
	ds_write2_b64 v45, v[4:5], v[61:62] offset1:1
	ds_write2_b64 v45, v[16:17], v[14:15] offset0:2 offset1:3
	ds_write2_b64 v45, v[12:13], v[10:11] offset0:4 offset1:5
	;; [unrolled: 1-line block ×7, first 2 shown]
	ds_write_b64 v45, v[38:39] offset:128
.LBB0_15:
	s_or_b32 exec_lo, exec_lo, s1
	v_and_b32_e32 v0, 0xff, v34
	v_add_nc_u16 v51, v34, 51
	v_add_nc_u16 v41, v34, 0x66
	;; [unrolled: 1-line block ×4, first 2 shown]
	v_mul_lo_u16 v0, 0xf1, v0
	v_and_b32_e32 v1, 0xff, v51
	v_mov_b32_e32 v50, 3
	v_add_nc_u32_e32 v45, 0xff, v34
	v_and_b32_e32 v49, 0xff, v48
	v_lshrrev_b16 v72, 12, v0
	v_and_b32_e32 v0, 0xff, v41
	v_mul_lo_u16 v40, 0xf1, v1
	v_add_nc_u32_e32 v46, 0x132, v34
	v_mul_lo_u16 v54, 0xf1, v49
	v_mul_lo_u16 v1, v72, 17
	;; [unrolled: 1-line block ×3, first 2 shown]
	v_lshrrev_b16 v73, 12, v40
	v_add_nc_u32_e32 v47, 0x165, v34
	v_lshrrev_b16 v78, 12, v54
	v_sub_nc_u16 v0, v34, v1
	v_lshrrev_b16 v74, 12, v53
	v_and_b32_e32 v1, 0xff, v52
	v_mul_lo_u16 v2, v73, 17
	v_mul_lo_u16 v4, v78, 17
	v_lshlrev_b32_sdwa v75, v50, v0 dst_sel:DWORD dst_unused:UNUSED_PAD src0_sel:DWORD src1_sel:BYTE_0
	v_mul_lo_u16 v3, v74, 17
	v_mul_lo_u16 v55, 0xf1, v1
	v_sub_nc_u16 v0, v51, v2
	v_mov_b32_e32 v2, 0xf0f1
	s_load_dwordx2 s[2:3], s[2:3], 0x0
	v_sub_nc_u16 v1, v41, v3
	v_lshrrev_b16 v76, 12, v55
	v_lshlrev_b32_sdwa v77, v50, v0 dst_sel:DWORD dst_unused:UNUSED_PAD src0_sel:DWORD src1_sel:BYTE_0
	v_mul_u32_u24_sdwa v0, v45, v2 dst_sel:DWORD dst_unused:UNUSED_PAD src0_sel:WORD_0 src1_sel:DWORD
	v_mul_u32_u24_sdwa v3, v46, v2 dst_sel:DWORD dst_unused:UNUSED_PAD src0_sel:WORD_0 src1_sel:DWORD
	v_lshlrev_b32_sdwa v79, v50, v1 dst_sel:DWORD dst_unused:UNUSED_PAD src0_sel:DWORD src1_sel:BYTE_0
	v_mul_lo_u16 v1, v76, 17
	v_mul_u32_u24_sdwa v2, v47, v2 dst_sel:DWORD dst_unused:UNUSED_PAD src0_sel:WORD_0 src1_sel:DWORD
	v_lshrrev_b32_e32 v80, 20, v0
	v_lshrrev_b32_e32 v81, 20, v3
	s_waitcnt lgkmcnt(0)
	v_sub_nc_u16 v0, v52, v1
	v_lshrrev_b32_e32 v82, 20, v2
	v_sub_nc_u16 v1, v48, v4
	v_mul_lo_u16 v2, v80, 17
	v_mul_lo_u16 v3, v81, 17
	v_lshlrev_b32_sdwa v83, v50, v0 dst_sel:DWORD dst_unused:UNUSED_PAD src0_sel:DWORD src1_sel:BYTE_0
	v_mul_lo_u16 v0, v82, 17
	v_lshlrev_b32_sdwa v84, v50, v1 dst_sel:DWORD dst_unused:UNUSED_PAD src0_sel:DWORD src1_sel:BYTE_0
	v_sub_nc_u16 v1, v45, v2
	v_sub_nc_u16 v2, v46, v3
	s_barrier
	buffer_gl0_inv
	s_clause 0x3
	global_load_dwordx2 v[56:57], v75, s[12:13]
	global_load_dwordx2 v[58:59], v77, s[12:13]
	;; [unrolled: 1-line block ×4, first 2 shown]
	v_sub_nc_u16 v0, v47, v0
	v_lshlrev_b32_sdwa v85, v50, v1 dst_sel:DWORD dst_unused:UNUSED_PAD src0_sel:DWORD src1_sel:WORD_0
	v_lshlrev_b32_sdwa v86, v50, v2 dst_sel:DWORD dst_unused:UNUSED_PAD src0_sel:DWORD src1_sel:WORD_0
	global_load_dwordx2 v[64:65], v84, s[12:13]
	v_mul_u32_u24_e32 v80, 0x110, v80
	v_lshlrev_b32_sdwa v87, v50, v0 dst_sel:DWORD dst_unused:UNUSED_PAD src0_sel:DWORD src1_sel:WORD_0
	s_clause 0x2
	global_load_dwordx2 v[66:67], v85, s[12:13]
	global_load_dwordx2 v[68:69], v86, s[12:13]
	;; [unrolled: 1-line block ×3, first 2 shown]
	ds_read2_b64 v[0:3], v44 offset1:51
	ds_read2_b64 v[4:7], v42 offset0:152 offset1:203
	ds_read2_b64 v[8:11], v44 offset0:102 offset1:153
	;; [unrolled: 1-line block ×7, first 2 shown]
	v_mov_b32_e32 v43, 0x110
	v_mul_u32_u24_e32 v81, 0x110, v81
	v_mul_u32_u24_e32 v82, 0x110, v82
	v_add_nc_u32_e32 v88, 0x400, v44
	s_waitcnt vmcnt(0) lgkmcnt(0)
	v_mul_u32_u24_sdwa v73, v73, v43 dst_sel:DWORD dst_unused:UNUSED_PAD src0_sel:WORD_0 src1_sel:DWORD
	v_mul_u32_u24_sdwa v72, v72, v43 dst_sel:DWORD dst_unused:UNUSED_PAD src0_sel:WORD_0 src1_sel:DWORD
	;; [unrolled: 1-line block ×5, first 2 shown]
	v_add3_u32 v73, 0, v73, v77
	v_add3_u32 v72, 0, v72, v75
	;; [unrolled: 1-line block ×8, first 2 shown]
	s_barrier
	buffer_gl0_inv
	v_cmp_gt_u32_e64 s0, 17, v34
	v_mul_f32_e32 v77, v57, v5
	v_mul_f32_e32 v57, v57, v4
	v_fma_f32 v4, v56, v4, -v77
	v_fmac_f32_e32 v57, v56, v5
	v_mul_f32_e32 v5, v59, v7
	v_mul_f32_e32 v56, v59, v6
	;; [unrolled: 1-line block ×14, first 2 shown]
	v_fma_f32 v6, v58, v6, -v5
	v_fmac_f32_e32 v56, v58, v7
	v_fma_f32 v12, v60, v12, -v59
	v_fmac_f32_e32 v61, v60, v13
	;; [unrolled: 2-line block ×7, first 2 shown]
	v_sub_f32_e32 v4, v0, v4
	v_sub_f32_e32 v5, v1, v57
	;; [unrolled: 1-line block ×16, first 2 shown]
	v_fma_f32 v0, v0, 2.0, -v4
	v_fma_f32 v1, v1, 2.0, -v5
	;; [unrolled: 1-line block ×16, first 2 shown]
	ds_write2_b64 v72, v[0:1], v[4:5] offset1:17
	ds_write2_b64 v73, v[2:3], v[6:7] offset1:17
	;; [unrolled: 1-line block ×8, first 2 shown]
	s_waitcnt lgkmcnt(0)
	s_barrier
	buffer_gl0_inv
	ds_read2_b64 v[4:7], v44 offset1:51
	ds_read2_b64 v[0:3], v88 offset0:76 offset1:144
	ds_read2_b64 v[12:15], v35 offset0:32 offset1:83
	;; [unrolled: 1-line block ×6, first 2 shown]
	ds_read_b64 v[42:43], v44 offset:5984
                                        ; implicit-def: $vgpr31
	s_and_saveexec_b32 s1, s0
	s_cbranch_execz .LBB0_17
; %bb.16:
	ds_read_b64 v[28:29], v44 offset:2040
	ds_read_b64 v[38:39], v44 offset:4216
	;; [unrolled: 1-line block ×3, first 2 shown]
.LBB0_17:
	s_or_b32 exec_lo, exec_lo, s1
	v_lshrrev_b16 v35, 13, v53
	v_lshrrev_b16 v73, 13, v54
	v_subrev_nc_u32_e32 v56, 34, v34
	v_cmp_gt_u32_e64 s1, 34, v34
	v_lshrrev_b16 v72, 13, v55
	v_mul_lo_u16 v53, v35, 34
	v_lshrrev_b16 v78, 13, v40
	v_mov_b32_e32 v66, 4
	v_cndmask_b32_e64 v77, v56, v34, s1
	v_mul_lo_u16 v54, v72, 34
	v_sub_nc_u16 v74, v41, v53
	v_mul_lo_u16 v41, v73, 34
	v_mul_lo_u16 v67, v78, 34
	v_lshlrev_b32_e32 v40, 1, v77
	v_sub_nc_u16 v75, v52, v54
	v_lshlrev_b32_sdwa v52, v66, v74 dst_sel:DWORD dst_unused:UNUSED_PAD src0_sel:DWORD src1_sel:BYTE_0
	v_sub_nc_u16 v76, v48, v41
	v_mov_b32_e32 v41, 0
	v_lshlrev_b32_sdwa v74, v50, v74 dst_sel:DWORD dst_unused:UNUSED_PAD src0_sel:DWORD src1_sel:BYTE_0
	v_lshlrev_b32_sdwa v57, v66, v75 dst_sel:DWORD dst_unused:UNUSED_PAD src0_sel:DWORD src1_sel:BYTE_0
	global_load_dwordx4 v[52:55], v52, s[12:13] offset:136
	v_lshlrev_b32_sdwa v60, v66, v76 dst_sel:DWORD dst_unused:UNUSED_PAD src0_sel:DWORD src1_sel:BYTE_0
	v_lshlrev_b64 v[64:65], 3, v[40:41]
	v_sub_nc_u16 v40, v51, v67
	global_load_dwordx4 v[56:59], v57, s[12:13] offset:136
	v_lshlrev_b32_sdwa v75, v50, v75 dst_sel:DWORD dst_unused:UNUSED_PAD src0_sel:DWORD src1_sel:BYTE_0
	global_load_dwordx4 v[60:63], v60, s[12:13] offset:136
	v_add_co_u32 v64, s1, s12, v64
	v_add_co_ci_u32_e64 v65, s1, s13, v65, s1
	v_lshlrev_b32_sdwa v51, v66, v40 dst_sel:DWORD dst_unused:UNUSED_PAD src0_sel:DWORD src1_sel:BYTE_0
	s_clause 0x1
	global_load_dwordx4 v[64:67], v[64:65], off offset:136
	global_load_dwordx4 v[68:71], v51, s[12:13] offset:136
	v_mov_b32_e32 v51, 0x330
	v_lshlrev_b32_sdwa v40, v50, v40 dst_sel:DWORD dst_unused:UNUSED_PAD src0_sel:DWORD src1_sel:BYTE_0
	v_lshlrev_b32_sdwa v50, v50, v76 dst_sel:DWORD dst_unused:UNUSED_PAD src0_sel:DWORD src1_sel:BYTE_0
	v_cmp_lt_u32_e64 s1, 33, v34
	s_waitcnt vmcnt(0) lgkmcnt(0)
	v_mul_u32_u24_sdwa v78, v78, v51 dst_sel:DWORD dst_unused:UNUSED_PAD src0_sel:WORD_0 src1_sel:DWORD
	v_mul_u32_u24_sdwa v35, v35, v51 dst_sel:DWORD dst_unused:UNUSED_PAD src0_sel:WORD_0 src1_sel:DWORD
	;; [unrolled: 1-line block ×4, first 2 shown]
	v_lshlrev_b32_e32 v73, 3, v77
	v_add3_u32 v40, 0, v78, v40
	v_add3_u32 v35, 0, v35, v74
	;; [unrolled: 1-line block ×4, first 2 shown]
	v_cndmask_b32_e64 v79, 0, 0x330, s1
	s_barrier
	buffer_gl0_inv
	v_add3_u32 v73, 0, v79, v73
	v_mul_f32_e32 v51, v53, v19
	v_mul_f32_e32 v53, v53, v18
	;; [unrolled: 1-line block ×12, first 2 shown]
	v_fmac_f32_e32 v53, v52, v19
	v_fma_f32 v19, v54, v20, -v74
	v_fmac_f32_e32 v55, v54, v21
	v_fma_f32 v20, v56, v24, -v75
	;; [unrolled: 2-line block ×5, first 2 shown]
	v_mul_f32_e32 v24, v65, v3
	v_mul_f32_e32 v25, v65, v2
	;; [unrolled: 1-line block ×4, first 2 shown]
	v_fma_f32 v18, v52, v18, -v51
	v_fmac_f32_e32 v63, v43, v62
	v_mul_f32_e32 v42, v69, v17
	v_mul_f32_e32 v43, v69, v16
	v_mul_f32_e32 v51, v71, v15
	v_mul_f32_e32 v52, v71, v14
	v_sub_f32_e32 v58, v53, v55
	v_add_f32_e32 v60, v9, v53
	v_add_f32_e32 v53, v53, v55
	;; [unrolled: 1-line block ×4, first 2 shown]
	v_sub_f32_e32 v77, v22, v23
	v_fma_f32 v22, v64, v2, -v24
	v_fmac_f32_e32 v25, v64, v3
	v_fma_f32 v24, v66, v12, -v26
	v_fmac_f32_e32 v27, v66, v13
	v_add_f32_e32 v56, v18, v19
	v_sub_f32_e32 v67, v57, v59
	v_add_f32_e32 v69, v11, v57
	v_add_f32_e32 v57, v57, v59
	v_fma_f32 v16, v68, v16, -v42
	v_fmac_f32_e32 v43, v68, v17
	v_fma_f32 v26, v70, v14, -v51
	v_fmac_f32_e32 v52, v70, v15
	v_add_f32_e32 v54, v8, v18
	v_fma_f32 v9, -0.5, v53, v9
	v_add_f32_e32 v42, v22, v24
	v_sub_f32_e32 v51, v25, v27
	v_add_f32_e32 v53, v5, v25
	v_add_f32_e32 v25, v25, v27
	v_fma_f32 v8, -0.5, v56, v8
	v_add_f32_e32 v13, v69, v59
	v_fmac_f32_e32 v11, -0.5, v57
	v_add_f32_e32 v56, v16, v26
	v_sub_f32_e32 v57, v43, v52
	v_add_f32_e32 v59, v7, v43
	v_add_f32_e32 v43, v43, v52
	;; [unrolled: 1-line block ×3, first 2 shown]
	v_sub_f32_e32 v75, v61, v63
	v_add_f32_e32 v76, v1, v61
	v_add_f32_e32 v61, v61, v63
	;; [unrolled: 1-line block ×6, first 2 shown]
	v_sub_f32_e32 v54, v22, v24
	v_add_f32_e32 v55, v6, v16
	v_fma_f32 v4, -0.5, v42, v4
	v_fma_f32 v5, -0.5, v25, v5
	v_sub_f32_e32 v60, v16, v26
	v_fma_f32 v6, -0.5, v56, v6
	v_fmac_f32_e32 v7, -0.5, v43
	v_sub_f32_e32 v18, v18, v19
	v_add_f32_e32 v62, v10, v20
	v_sub_f32_e32 v20, v20, v21
	v_fma_f32 v10, -0.5, v65, v10
	v_fma_f32 v0, -0.5, v74, v0
	v_fmac_f32_e32 v1, -0.5, v61
	v_add_f32_e32 v22, v23, v24
	v_add_f32_e32 v23, v53, v27
	;; [unrolled: 1-line block ×3, first 2 shown]
	v_fmamk_f32 v26, v51, 0x3f5db3d7, v4
	v_fmamk_f32 v27, v54, 0xbf5db3d7, v5
	v_fmac_f32_e32 v4, 0xbf5db3d7, v51
	v_fmac_f32_e32 v5, 0x3f5db3d7, v54
	v_add_f32_e32 v25, v59, v52
	v_fmamk_f32 v42, v57, 0x3f5db3d7, v6
	v_fmamk_f32 v43, v60, 0xbf5db3d7, v7
	v_fmac_f32_e32 v6, 0xbf5db3d7, v57
	v_fmac_f32_e32 v7, 0x3f5db3d7, v60
	v_fmamk_f32 v16, v58, 0x3f5db3d7, v8
	v_fmamk_f32 v17, v18, 0xbf5db3d7, v9
	v_add_f32_e32 v12, v62, v21
	v_add_f32_e32 v15, v76, v63
	v_fmac_f32_e32 v8, 0xbf5db3d7, v58
	v_fmac_f32_e32 v9, 0x3f5db3d7, v18
	v_fmamk_f32 v18, v67, 0x3f5db3d7, v10
	v_fmac_f32_e32 v10, 0xbf5db3d7, v67
	v_fmamk_f32 v19, v20, 0xbf5db3d7, v11
	;; [unrolled: 2-line block ×4, first 2 shown]
	v_fmac_f32_e32 v1, 0x3f5db3d7, v77
	ds_write2_b64 v73, v[22:23], v[26:27] offset1:34
	ds_write_b64 v73, v[4:5] offset:544
	ds_write2_b64 v40, v[24:25], v[42:43] offset1:34
	ds_write_b64 v40, v[6:7] offset:544
	;; [unrolled: 2-line block ×5, first 2 shown]
	s_and_saveexec_b32 s1, s0
	s_cbranch_execz .LBB0_19
; %bb.18:
	v_mov_b32_e32 v0, 0xf0f1
	v_mul_u32_u24_sdwa v0, v45, v0 dst_sel:DWORD dst_unused:UNUSED_PAD src0_sel:WORD_0 src1_sel:DWORD
	v_lshrrev_b32_e32 v0, 21, v0
	v_mul_lo_u16 v0, v0, 34
	v_sub_nc_u16 v0, v45, v0
	v_and_b32_e32 v4, 0xffff, v0
	v_lshlrev_b32_e32 v0, 4, v4
	v_lshl_add_u32 v8, v4, 3, 0
	global_load_dwordx4 v[0:3], v0, s[12:13] offset:136
	v_add_nc_u32_e32 v9, 0x1000, v8
	s_waitcnt vmcnt(0)
	v_mul_f32_e32 v5, v39, v1
	v_mul_f32_e32 v6, v38, v1
	;; [unrolled: 1-line block ×4, first 2 shown]
	v_fma_f32 v3, v38, v0, -v5
	v_fmac_f32_e32 v6, v39, v0
	v_fmac_f32_e32 v7, v31, v2
	v_fma_f32 v2, v30, v2, -v1
	v_add_f32_e32 v11, v28, v3
	v_add_f32_e32 v10, v29, v6
	;; [unrolled: 1-line block ×4, first 2 shown]
	v_sub_f32_e32 v4, v3, v2
	v_sub_f32_e32 v6, v6, v7
	v_add_f32_e32 v3, v10, v7
	v_fma_f32 v1, -0.5, v0, v29
	v_fma_f32 v0, -0.5, v5, v28
	v_add_f32_e32 v2, v11, v2
	v_fmamk_f32 v5, v4, 0x3f5db3d7, v1
	v_fmac_f32_e32 v1, 0xbf5db3d7, v4
	v_fmamk_f32 v4, v6, 0xbf5db3d7, v0
	v_fmac_f32_e32 v0, 0x3f5db3d7, v6
	ds_write2_b64 v9, v[2:3], v[0:1] offset0:202 offset1:236
	ds_write_b64 v8, v[4:5] offset:6256
.LBB0_19:
	s_or_b32 exec_lo, exec_lo, s1
	v_mul_lo_u16 v4, 0xa1, v49
	v_mov_b32_e32 v35, v41
	v_mov_b32_e32 v5, 0xa0a1
	;; [unrolled: 1-line block ×3, first 2 shown]
	s_waitcnt lgkmcnt(0)
	v_lshrrev_b16 v4, 14, v4
	v_lshlrev_b64 v[0:1], 3, v[34:35]
	v_mul_u32_u24_sdwa v6, v45, v5 dst_sel:DWORD dst_unused:UNUSED_PAD src0_sel:WORD_0 src1_sel:DWORD
	v_mul_u32_u24_sdwa v8, v46, v5 dst_sel:DWORD dst_unused:UNUSED_PAD src0_sel:WORD_0 src1_sel:DWORD
	;; [unrolled: 1-line block ×3, first 2 shown]
	v_mul_lo_u16 v4, 0x66, v4
	s_barrier
	v_lshrrev_b32_e32 v6, 22, v6
	v_add_co_u32 v2, s0, s12, v0
	v_sub_nc_u16 v4, v48, v4
	v_lshrrev_b32_e32 v8, 22, v8
	v_add_co_ci_u32_e64 v3, s0, s13, v1, s0
	buffer_gl0_inv
	v_lshlrev_b32_sdwa v31, v7, v4 dst_sel:DWORD dst_unused:UNUSED_PAD src0_sel:DWORD src1_sel:BYTE_0
	v_lshrrev_b32_e32 v4, 22, v5
	v_mul_lo_u16 v5, 0x66, v6
	v_mul_lo_u16 v6, 0x66, v8
	s_clause 0x1
	global_load_dwordx2 v[42:43], v[2:3], off offset:680
	global_load_dwordx2 v[49:50], v[2:3], off offset:1088
	v_mul_lo_u16 v4, 0x66, v4
	v_sub_nc_u16 v5, v45, v5
	v_sub_nc_u16 v6, v46, v6
	global_load_dwordx2 v[51:52], v31, s[12:13] offset:680
	v_add_nc_u32_e32 v31, 0, v31
	v_sub_nc_u16 v4, v47, v4
	v_lshlrev_b32_sdwa v35, v7, v5 dst_sel:DWORD dst_unused:UNUSED_PAD src0_sel:DWORD src1_sel:WORD_0
	v_lshlrev_b32_sdwa v61, v7, v6 dst_sel:DWORD dst_unused:UNUSED_PAD src0_sel:DWORD src1_sel:WORD_0
	v_add_nc_u32_e32 v6, 0xc00, v44
	v_add_nc_u32_e32 v5, 0x1000, v44
	v_lshlrev_b32_sdwa v62, v7, v4 dst_sel:DWORD dst_unused:UNUSED_PAD src0_sel:DWORD src1_sel:WORD_0
	v_add_nc_u32_e32 v4, 0x800, v44
	s_clause 0x2
	global_load_dwordx2 v[53:54], v35, s[12:13] offset:680
	global_load_dwordx2 v[55:56], v61, s[12:13] offset:680
	global_load_dwordx2 v[57:58], v62, s[12:13] offset:680
	ds_read2_b64 v[7:10], v44 offset1:51
	ds_read2_b64 v[11:14], v44 offset0:102 offset1:153
	ds_read2_b64 v[15:18], v44 offset0:204 offset1:255
	;; [unrolled: 1-line block ×7, first 2 shown]
	s_waitcnt vmcnt(0) lgkmcnt(0)
	s_barrier
	buffer_gl0_inv
	v_add_nc_u32_e32 v35, 0, v35
	v_add_nc_u32_e32 v61, 0, v61
	;; [unrolled: 1-line block ×3, first 2 shown]
	v_add_co_u32 v59, s0, 0x800, v2
	v_add_nc_u32_e32 v31, 0x800, v31
	v_add_co_ci_u32_e64 v60, s0, 0, v3, s0
	v_add_nc_u32_e32 v35, 0x800, v35
	v_add_nc_u32_e32 v61, 0x1000, v61
	;; [unrolled: 1-line block ×3, first 2 shown]
	s_add_u32 s1, s12, 0x18f8
	s_addc_u32 s4, s13, 0
	s_mov_b32 s5, exec_lo
	v_mul_f32_e32 v63, v43, v20
	v_mul_f32_e32 v64, v43, v19
	;; [unrolled: 1-line block ×8, first 2 shown]
	v_fma_f32 v19, v42, v19, -v63
	v_fmac_f32_e32 v64, v42, v20
	v_fma_f32 v21, v49, v21, -v65
	v_fmac_f32_e32 v66, v49, v22
	v_fma_f32 v23, v42, v23, -v67
	v_fmac_f32_e32 v43, v42, v24
	v_fma_f32 v25, v49, v25, -v68
	v_fmac_f32_e32 v50, v49, v26
	v_mul_f32_e32 v42, v28, v52
	v_mul_f32_e32 v49, v27, v52
	v_sub_f32_e32 v19, v7, v19
	v_sub_f32_e32 v20, v8, v64
	;; [unrolled: 1-line block ×4, first 2 shown]
	v_fma_f32 v27, v27, v51, -v42
	v_fmac_f32_e32 v49, v28, v51
	v_mul_f32_e32 v28, v30, v54
	v_mul_f32_e32 v42, v29, v54
	v_sub_f32_e32 v23, v11, v23
	v_sub_f32_e32 v24, v12, v43
	;; [unrolled: 1-line block ×4, first 2 shown]
	v_mul_f32_e32 v43, v46, v56
	v_mul_f32_e32 v50, v45, v56
	v_mul_f32_e32 v51, v48, v58
	v_mul_f32_e32 v52, v47, v58
	v_fma_f32 v7, v7, 2.0, -v19
	v_fma_f32 v8, v8, 2.0, -v20
	;; [unrolled: 1-line block ×4, first 2 shown]
	ds_write2_b64 v44, v[19:20], v[21:22] offset0:102 offset1:153
	ds_write2_b64 v4, v[23:24], v[25:26] offset0:50 offset1:101
	v_fma_f32 v21, v29, v53, -v28
	v_fmac_f32_e32 v42, v30, v53
	v_fma_f32 v22, v45, v55, -v43
	v_fmac_f32_e32 v50, v46, v55
	v_sub_f32_e32 v19, v15, v27
	v_sub_f32_e32 v20, v16, v49
	v_fma_f32 v11, v11, 2.0, -v23
	v_fma_f32 v23, v47, v57, -v51
	v_fmac_f32_e32 v52, v48, v57
	ds_write2_b64 v44, v[7:8], v[9:10] offset1:51
	v_sub_f32_e32 v9, v17, v21
	v_sub_f32_e32 v10, v18, v42
	v_fma_f32 v7, v15, 2.0, -v19
	v_fma_f32 v8, v16, 2.0, -v20
	v_sub_f32_e32 v15, v38, v22
	v_sub_f32_e32 v16, v39, v50
	;; [unrolled: 1-line block ×4, first 2 shown]
	v_fma_f32 v12, v12, 2.0, -v24
	v_fma_f32 v13, v13, 2.0, -v25
	;; [unrolled: 1-line block ×9, first 2 shown]
	ds_write2_b64 v44, v[11:12], v[13:14] offset0:204 offset1:255
	ds_write2_b64 v31, v[7:8], v[19:20] offset0:152 offset1:254
	;; [unrolled: 1-line block ×5, first 2 shown]
	s_waitcnt lgkmcnt(0)
	s_barrier
	buffer_gl0_inv
	s_clause 0x3
	global_load_dwordx2 v[42:43], v[2:3], off offset:1496
	global_load_dwordx2 v[49:50], v[2:3], off offset:1904
	;; [unrolled: 1-line block ×4, first 2 shown]
	ds_read2_b64 v[7:10], v4 offset0:152 offset1:203
	ds_read2_b64 v[11:14], v6 offset0:126 offset1:177
	;; [unrolled: 1-line block ×4, first 2 shown]
	ds_read2_b64 v[23:26], v44 offset1:51
	ds_read2_b64 v[27:30], v44 offset0:102 offset1:153
	ds_read2_b64 v[38:41], v44 offset0:204 offset1:255
	;; [unrolled: 1-line block ×3, first 2 shown]
	v_add_co_u32 v2, s0, 0x1000, v2
	v_add_co_ci_u32_e64 v3, s0, 0, v3, s0
	s_waitcnt vmcnt(0) lgkmcnt(0)
	s_barrier
	buffer_gl0_inv
	v_mul_f32_e32 v31, v43, v8
	v_mul_f32_e32 v35, v43, v7
	v_mul_f32_e32 v55, v50, v10
	v_mul_f32_e32 v56, v50, v9
	v_mul_f32_e32 v57, v52, v12
	v_mul_f32_e32 v58, v52, v11
	v_mul_f32_e32 v65, v20, v52
	v_mul_f32_e32 v52, v19, v52
	v_mul_f32_e32 v61, v54, v14
	v_mul_f32_e32 v62, v54, v13
	v_mul_f32_e32 v63, v16, v43
	v_mul_f32_e32 v43, v15, v43
	v_mul_f32_e32 v64, v18, v50
	v_mul_f32_e32 v50, v17, v50
	v_mul_f32_e32 v66, v22, v54
	v_mul_f32_e32 v54, v21, v54
	v_fma_f32 v7, v42, v7, -v31
	v_fmac_f32_e32 v35, v42, v8
	v_fma_f32 v9, v49, v9, -v55
	v_fmac_f32_e32 v56, v49, v10
	;; [unrolled: 2-line block ×8, first 2 shown]
	v_sub_f32_e32 v7, v23, v7
	v_sub_f32_e32 v8, v24, v35
	;; [unrolled: 1-line block ×16, first 2 shown]
	v_fma_f32 v23, v23, 2.0, -v7
	v_fma_f32 v24, v24, 2.0, -v8
	;; [unrolled: 1-line block ×16, first 2 shown]
	ds_write2_b64 v44, v[7:8], v[9:10] offset0:204 offset1:255
	ds_write2_b64 v4, v[11:12], v[13:14] offset0:50 offset1:101
	;; [unrolled: 1-line block ×4, first 2 shown]
	ds_write2_b64 v44, v[23:24], v[25:26] offset1:51
	ds_write2_b64 v44, v[27:28], v[29:30] offset0:102 offset1:153
	ds_write2_b64 v4, v[38:39], v[40:41] offset0:152 offset1:203
	;; [unrolled: 1-line block ×3, first 2 shown]
	s_waitcnt lgkmcnt(0)
	s_barrier
	buffer_gl0_inv
	s_clause 0x7
	global_load_dwordx2 v[42:43], v[59:60], off offset:1080
	global_load_dwordx2 v[49:50], v[59:60], off offset:1488
	;; [unrolled: 1-line block ×8, first 2 shown]
	ds_read2_b64 v[7:10], v4 offset0:152 offset1:203
	ds_read2_b64 v[11:14], v6 offset0:126 offset1:177
	;; [unrolled: 1-line block ×4, first 2 shown]
	ds_read2_b64 v[23:26], v44 offset1:51
	ds_read2_b64 v[27:30], v44 offset0:102 offset1:153
	ds_read2_b64 v[38:41], v44 offset0:204 offset1:255
	;; [unrolled: 1-line block ×3, first 2 shown]
	s_waitcnt vmcnt(0) lgkmcnt(0)
	s_barrier
	buffer_gl0_inv
	v_mul_f32_e32 v61, v52, v12
	v_mul_f32_e32 v52, v52, v11
	;; [unrolled: 1-line block ×16, first 2 shown]
	v_fma_f32 v3, v42, v7, -v31
	v_fmac_f32_e32 v35, v42, v8
	v_fma_f32 v7, v49, v9, -v43
	v_fmac_f32_e32 v50, v49, v10
	;; [unrolled: 2-line block ×8, first 2 shown]
	v_sub_f32_e32 v2, v23, v3
	v_sub_f32_e32 v3, v24, v35
	;; [unrolled: 1-line block ×16, first 2 shown]
	v_fma_f32 v21, v23, 2.0, -v2
	v_fma_f32 v22, v24, 2.0, -v3
	;; [unrolled: 1-line block ×16, first 2 shown]
	ds_write2_b64 v4, v[2:3], v[7:8] offset0:152 offset1:203
	ds_write2_b64 v6, v[9:10], v[11:12] offset0:126 offset1:177
	;; [unrolled: 1-line block ×4, first 2 shown]
	ds_write2_b64 v44, v[21:22], v[23:24] offset1:51
	ds_write2_b64 v44, v[25:26], v[27:28] offset0:102 offset1:153
	ds_write2_b64 v44, v[29:30], v[38:39] offset0:204 offset1:255
	;; [unrolled: 1-line block ×3, first 2 shown]
	s_waitcnt lgkmcnt(0)
	s_barrier
	buffer_gl0_inv
	ds_read_b64 v[4:5], v44
	v_lshlrev_b32_e32 v2, 3, v34
                                        ; implicit-def: $vgpr7
                                        ; implicit-def: $vgpr8
	v_sub_nc_u32_e32 v6, 0, v2
                                        ; implicit-def: $vgpr2
	v_cmpx_ne_u32_e32 0, v34
	s_xor_b32 s5, exec_lo, s5
	s_cbranch_execz .LBB0_21
; %bb.20:
	v_add_co_u32 v2, s0, s1, v0
	v_add_co_ci_u32_e64 v3, s0, s4, v1, s0
	global_load_dwordx2 v[9:10], v[2:3], off
	ds_read_b64 v[2:3], v6 offset:6528
	s_waitcnt lgkmcnt(0)
	v_sub_f32_e32 v7, v4, v2
	v_add_f32_e32 v8, v3, v5
	v_sub_f32_e32 v3, v5, v3
	v_add_f32_e32 v2, v2, v4
	v_mul_f32_e32 v5, 0.5, v7
	v_mul_f32_e32 v4, 0.5, v8
	v_mul_f32_e32 v3, 0.5, v3
	s_waitcnt vmcnt(0)
	v_mul_f32_e32 v8, v10, v5
	v_fma_f32 v11, v4, v10, v3
	v_fma_f32 v3, v4, v10, -v3
	v_fma_f32 v7, 0.5, v2, v8
	v_fma_f32 v2, v2, 0.5, -v8
	v_fma_f32 v8, -v9, v5, v11
	v_fma_f32 v3, -v9, v5, v3
	v_fmac_f32_e32 v7, v9, v4
	v_fma_f32 v2, -v9, v4, v2
                                        ; implicit-def: $vgpr4_vgpr5
.LBB0_21:
	s_andn2_saveexec_b32 s0, s5
	s_cbranch_execz .LBB0_23
; %bb.22:
	v_mov_b32_e32 v8, 0
	s_waitcnt lgkmcnt(0)
	v_add_f32_e32 v7, v4, v5
	v_sub_f32_e32 v2, v4, v5
	ds_read_b32 v3, v8 offset:3268
	s_waitcnt lgkmcnt(0)
	v_xor_b32_e32 v4, 0x80000000, v3
	v_mov_b32_e32 v3, 0
	ds_write_b32 v8, v4 offset:3268
.LBB0_23:
	s_or_b32 exec_lo, exec_lo, s0
	v_add_co_u32 v0, s0, s1, v0
	v_add_co_ci_u32_e64 v1, s0, s4, v1, s0
	s_waitcnt lgkmcnt(0)
	s_clause 0x4
	global_load_dwordx2 v[4:5], v[0:1], off offset:408
	global_load_dwordx2 v[9:10], v[0:1], off offset:816
	;; [unrolled: 1-line block ×5, first 2 shown]
	v_add_co_u32 v0, s0, 0x800, v0
	v_add_co_ci_u32_e64 v1, s0, 0, v1, s0
	global_load_dwordx2 v[17:18], v[0:1], off offset:400
	ds_write2_b32 v44, v7, v8 offset1:1
	ds_write_b64 v6, v[2:3] offset:6528
	global_load_dwordx2 v[0:1], v[0:1], off offset:808
	ds_read_b64 v[2:3], v44 offset:408
	ds_read_b64 v[7:8], v6 offset:6120
	s_waitcnt lgkmcnt(0)
	v_sub_f32_e32 v19, v2, v7
	v_add_f32_e32 v20, v3, v8
	v_sub_f32_e32 v3, v3, v8
	v_add_f32_e32 v2, v2, v7
	v_mul_f32_e32 v8, 0.5, v19
	v_mul_f32_e32 v19, 0.5, v20
	;; [unrolled: 1-line block ×3, first 2 shown]
	s_waitcnt vmcnt(6)
	v_mul_f32_e32 v7, v5, v8
	v_fma_f32 v20, v19, v5, v3
	v_fma_f32 v3, v19, v5, -v3
	v_fma_f32 v5, 0.5, v2, v7
	v_fma_f32 v2, v2, 0.5, -v7
	v_fma_f32 v7, -v4, v8, v20
	v_fma_f32 v3, -v4, v8, v3
	v_fmac_f32_e32 v5, v4, v19
	v_fma_f32 v2, -v4, v19, v2
	ds_write2_b32 v44, v5, v7 offset0:102 offset1:103
	ds_write_b64 v6, v[2:3] offset:6120
	ds_read_b64 v[2:3], v44 offset:816
	ds_read_b64 v[4:5], v6 offset:5712
	s_waitcnt lgkmcnt(0)
	v_sub_f32_e32 v7, v2, v4
	v_add_f32_e32 v8, v3, v5
	v_sub_f32_e32 v3, v3, v5
	v_add_f32_e32 v2, v2, v4
	v_mul_f32_e32 v5, 0.5, v7
	v_mul_f32_e32 v7, 0.5, v8
	;; [unrolled: 1-line block ×3, first 2 shown]
	s_waitcnt vmcnt(5)
	v_mul_f32_e32 v4, v10, v5
	v_fma_f32 v8, v7, v10, v3
	v_fma_f32 v3, v7, v10, -v3
	v_fma_f32 v10, 0.5, v2, v4
	v_fma_f32 v2, v2, 0.5, -v4
	v_fma_f32 v4, -v9, v5, v8
	v_fma_f32 v3, -v9, v5, v3
	v_fmac_f32_e32 v10, v9, v7
	v_fma_f32 v2, -v9, v7, v2
	ds_write2_b32 v44, v10, v4 offset0:204 offset1:205
	ds_write_b64 v6, v[2:3] offset:5712
	ds_read_b64 v[2:3], v44 offset:1224
	ds_read_b64 v[4:5], v6 offset:5304
	v_add_nc_u32_e32 v10, 0x400, v44
	s_waitcnt lgkmcnt(0)
	v_sub_f32_e32 v7, v2, v4
	v_add_f32_e32 v8, v3, v5
	v_sub_f32_e32 v3, v3, v5
	v_add_f32_e32 v2, v2, v4
	v_mul_f32_e32 v5, 0.5, v7
	v_mul_f32_e32 v7, 0.5, v8
	v_mul_f32_e32 v3, 0.5, v3
	s_waitcnt vmcnt(4)
	v_mul_f32_e32 v4, v12, v5
	v_fma_f32 v8, v7, v12, v3
	v_fma_f32 v3, v7, v12, -v3
	v_fma_f32 v9, 0.5, v2, v4
	v_fma_f32 v2, v2, 0.5, -v4
	v_fma_f32 v4, -v11, v5, v8
	v_fma_f32 v3, -v11, v5, v3
	v_fmac_f32_e32 v9, v11, v7
	v_fma_f32 v2, -v11, v7, v2
	ds_write2_b32 v10, v9, v4 offset0:50 offset1:51
	ds_write_b64 v6, v[2:3] offset:5304
	ds_read_b64 v[2:3], v44 offset:1632
	ds_read_b64 v[4:5], v6 offset:4896
	s_waitcnt lgkmcnt(0)
	v_sub_f32_e32 v7, v2, v4
	v_add_f32_e32 v8, v3, v5
	v_sub_f32_e32 v3, v3, v5
	v_add_f32_e32 v2, v2, v4
	v_mul_f32_e32 v5, 0.5, v7
	v_mul_f32_e32 v7, 0.5, v8
	v_mul_f32_e32 v3, 0.5, v3
	s_waitcnt vmcnt(3)
	v_mul_f32_e32 v4, v14, v5
	v_fma_f32 v8, v7, v14, v3
	v_fma_f32 v3, v7, v14, -v3
	v_fma_f32 v9, 0.5, v2, v4
	v_fma_f32 v2, v2, 0.5, -v4
	v_fma_f32 v4, -v13, v5, v8
	v_fma_f32 v3, -v13, v5, v3
	v_fmac_f32_e32 v9, v13, v7
	v_fma_f32 v2, -v13, v7, v2
	ds_write2_b32 v10, v9, v4 offset0:152 offset1:153
	ds_write_b64 v6, v[2:3] offset:4896
	ds_read_b64 v[2:3], v44 offset:2040
	ds_read_b64 v[4:5], v6 offset:4488
	;; [unrolled: 22-line block ×3, first 2 shown]
	v_add_nc_u32_e32 v10, 0x800, v44
	s_waitcnt lgkmcnt(0)
	v_sub_f32_e32 v7, v2, v4
	v_add_f32_e32 v8, v3, v5
	v_sub_f32_e32 v3, v3, v5
	v_add_f32_e32 v2, v2, v4
	v_mul_f32_e32 v5, 0.5, v7
	v_mul_f32_e32 v7, 0.5, v8
	;; [unrolled: 1-line block ×3, first 2 shown]
	s_waitcnt vmcnt(1)
	v_mul_f32_e32 v4, v18, v5
	v_fma_f32 v8, v7, v18, v3
	v_fma_f32 v3, v7, v18, -v3
	v_fma_f32 v9, 0.5, v2, v4
	v_fma_f32 v2, v2, 0.5, -v4
	v_fma_f32 v4, -v17, v5, v8
	v_fma_f32 v3, -v17, v5, v3
	v_fmac_f32_e32 v9, v17, v7
	v_fma_f32 v2, -v17, v7, v2
	ds_write2_b32 v10, v9, v4 offset0:100 offset1:101
	ds_write_b64 v6, v[2:3] offset:4080
	ds_read_b64 v[2:3], v44 offset:2856
	ds_read_b64 v[4:5], v6 offset:3672
	s_waitcnt lgkmcnt(0)
	v_sub_f32_e32 v7, v2, v4
	v_add_f32_e32 v8, v3, v5
	v_sub_f32_e32 v3, v3, v5
	v_add_f32_e32 v2, v2, v4
	v_mul_f32_e32 v5, 0.5, v7
	v_mul_f32_e32 v7, 0.5, v8
	;; [unrolled: 1-line block ×3, first 2 shown]
	s_waitcnt vmcnt(0)
	v_mul_f32_e32 v4, v1, v5
	v_fma_f32 v8, v7, v1, v3
	v_fma_f32 v1, v7, v1, -v3
	v_fma_f32 v3, 0.5, v2, v4
	v_fma_f32 v2, v2, 0.5, -v4
	v_fma_f32 v4, -v0, v5, v8
	v_fma_f32 v1, -v0, v5, v1
	v_fmac_f32_e32 v3, v0, v7
	v_fma_f32 v0, -v0, v7, v2
	ds_write2_b32 v10, v3, v4 offset0:202 offset1:203
	ds_write_b64 v6, v[0:1] offset:3672
	s_waitcnt lgkmcnt(0)
	s_barrier
	buffer_gl0_inv
	s_and_saveexec_b32 s0, vcc_lo
	s_cbranch_execz .LBB0_26
; %bb.24:
	v_mul_lo_u32 v2, s3, v36
	v_mul_lo_u32 v3, s2, v37
	v_mad_u64_u32 v[0:1], null, s2, v36, 0
	v_lshl_add_u32 v24, v34, 3, 0
	v_mov_b32_e32 v35, 0
	v_lshlrev_b64 v[10:11], 3, v[32:33]
	v_add_nc_u32_e32 v12, 51, v34
	v_add_nc_u32_e32 v14, 0x66, v34
	ds_read2_b64 v[6:9], v24 offset0:102 offset1:153
	v_add3_u32 v1, v1, v3, v2
	ds_read2_b64 v[2:5], v24 offset1:51
	v_mov_b32_e32 v13, v35
	v_lshlrev_b64 v[16:17], 3, v[34:35]
	v_mov_b32_e32 v15, v35
	v_lshlrev_b64 v[0:1], 3, v[0:1]
	v_add_nc_u32_e32 v25, 0x800, v24
	v_lshlrev_b64 v[12:13], 3, v[12:13]
	v_add_nc_u32_e32 v18, 0x165, v34
	v_mov_b32_e32 v19, v35
	v_add_nc_u32_e32 v22, 0x198, v34
	v_add_co_u32 v0, vcc_lo, s10, v0
	v_add_co_ci_u32_e32 v1, vcc_lo, s11, v1, vcc_lo
	v_mov_b32_e32 v23, v35
	v_add_co_u32 v0, vcc_lo, v0, v10
	v_add_co_ci_u32_e32 v1, vcc_lo, v1, v11, vcc_lo
	v_lshlrev_b64 v[10:11], 3, v[14:15]
	v_add_co_u32 v14, vcc_lo, v0, v16
	v_add_co_ci_u32_e32 v15, vcc_lo, v1, v17, vcc_lo
	v_add_nc_u32_e32 v16, 0x99, v34
	v_mov_b32_e32 v17, v35
	v_add_co_u32 v12, vcc_lo, v0, v12
	v_add_co_ci_u32_e32 v13, vcc_lo, v1, v13, vcc_lo
	v_add_co_u32 v10, vcc_lo, v0, v10
	v_lshlrev_b64 v[16:17], 3, v[16:17]
	v_add_co_ci_u32_e32 v11, vcc_lo, v1, v11, vcc_lo
	s_waitcnt lgkmcnt(0)
	global_store_dwordx2 v[14:15], v[2:3], off
	global_store_dwordx2 v[12:13], v[4:5], off
	;; [unrolled: 1-line block ×3, first 2 shown]
	v_add_nc_u32_e32 v6, 0xcc, v34
	v_mov_b32_e32 v7, v35
	v_add_co_u32 v2, vcc_lo, v0, v16
	v_add_co_ci_u32_e32 v3, vcc_lo, v1, v17, vcc_lo
	v_add_nc_u32_e32 v10, 0xff, v34
	v_mov_b32_e32 v11, v35
	v_lshlrev_b64 v[12:13], 3, v[6:7]
	global_store_dwordx2 v[2:3], v[8:9], off
	ds_read2_b64 v[2:5], v24 offset0:204 offset1:255
	v_add_nc_u32_e32 v14, 0x132, v34
	v_mov_b32_e32 v15, v35
	v_lshlrev_b64 v[10:11], 3, v[10:11]
	ds_read2_b64 v[6:9], v25 offset0:50 offset1:101
	v_add_co_u32 v16, vcc_lo, v0, v12
	v_add_co_ci_u32_e32 v17, vcc_lo, v1, v13, vcc_lo
	v_lshlrev_b64 v[12:13], 3, v[14:15]
	v_add_co_u32 v14, vcc_lo, v0, v10
	v_add_co_ci_u32_e32 v15, vcc_lo, v1, v11, vcc_lo
	v_lshlrev_b64 v[18:19], 3, v[18:19]
	v_add_co_u32 v20, vcc_lo, v0, v12
	v_add_co_ci_u32_e32 v21, vcc_lo, v1, v13, vcc_lo
	ds_read2_b64 v[10:13], v25 offset0:152 offset1:203
	s_waitcnt lgkmcnt(2)
	global_store_dwordx2 v[16:17], v[2:3], off
	global_store_dwordx2 v[14:15], v[4:5], off
	s_waitcnt lgkmcnt(1)
	global_store_dwordx2 v[20:21], v[6:7], off
	v_lshlrev_b64 v[2:3], 3, v[22:23]
	v_add_co_u32 v4, vcc_lo, v0, v18
	v_add_co_ci_u32_e32 v5, vcc_lo, v1, v19, vcc_lo
	v_add_nc_u32_e32 v16, 0xc00, v24
	v_add_co_u32 v2, vcc_lo, v0, v2
	v_add_co_ci_u32_e32 v3, vcc_lo, v1, v3, vcc_lo
	v_add_nc_u32_e32 v6, 0x1cb, v34
	v_mov_b32_e32 v7, v35
	global_store_dwordx2 v[4:5], v[8:9], off
	s_waitcnt lgkmcnt(0)
	global_store_dwordx2 v[2:3], v[10:11], off
	v_add_nc_u32_e32 v14, 0x1fe, v34
	v_mov_b32_e32 v15, v35
	ds_read2_b64 v[2:5], v16 offset0:126 offset1:177
	v_lshlrev_b64 v[6:7], 3, v[6:7]
	v_add_nc_u32_e32 v10, 0x231, v34
	v_mov_b32_e32 v11, v35
	v_lshlrev_b64 v[8:9], 3, v[14:15]
	v_add_nc_u32_e32 v14, 0x264, v34
	v_add_nc_u32_e32 v16, 0x1000, v24
	v_add_co_u32 v6, vcc_lo, v0, v6
	v_lshlrev_b64 v[10:11], 3, v[10:11]
	v_add_co_ci_u32_e32 v7, vcc_lo, v1, v7, vcc_lo
	v_add_co_u32 v8, vcc_lo, v0, v8
	v_add_co_ci_u32_e32 v9, vcc_lo, v1, v9, vcc_lo
	v_add_co_u32 v10, vcc_lo, v0, v10
	v_add_co_ci_u32_e32 v11, vcc_lo, v1, v11, vcc_lo
	global_store_dwordx2 v[6:7], v[12:13], off
	s_waitcnt lgkmcnt(0)
	global_store_dwordx2 v[8:9], v[2:3], off
	global_store_dwordx2 v[10:11], v[4:5], off
	v_lshlrev_b64 v[6:7], 3, v[14:15]
	v_add_nc_u32_e32 v8, 0x297, v34
	v_mov_b32_e32 v9, v35
	v_add_nc_u32_e32 v10, 0x2ca, v34
	v_mov_b32_e32 v11, v35
	ds_read2_b64 v[2:5], v16 offset0:100 offset1:151
	v_add_co_u32 v12, vcc_lo, v0, v6
	v_lshlrev_b64 v[14:15], 3, v[8:9]
	v_add_co_ci_u32_e32 v13, vcc_lo, v1, v7, vcc_lo
	ds_read2_b64 v[6:9], v16 offset0:202 offset1:253
	v_add_nc_u32_e32 v16, 0x2fd, v34
	v_mov_b32_e32 v17, v35
	v_lshlrev_b64 v[10:11], 3, v[10:11]
	v_add_co_u32 v14, vcc_lo, v0, v14
	v_add_co_ci_u32_e32 v15, vcc_lo, v1, v15, vcc_lo
	v_lshlrev_b64 v[16:17], 3, v[16:17]
	v_add_co_u32 v10, vcc_lo, v0, v10
	v_add_co_ci_u32_e32 v11, vcc_lo, v1, v11, vcc_lo
	v_add_co_u32 v16, vcc_lo, v0, v16
	v_add_co_ci_u32_e32 v17, vcc_lo, v1, v17, vcc_lo
	v_cmp_eq_u32_e32 vcc_lo, 50, v34
	s_waitcnt lgkmcnt(1)
	global_store_dwordx2 v[12:13], v[2:3], off
	global_store_dwordx2 v[14:15], v[4:5], off
	s_waitcnt lgkmcnt(0)
	global_store_dwordx2 v[10:11], v[6:7], off
	global_store_dwordx2 v[16:17], v[8:9], off
	s_and_b32 exec_lo, exec_lo, vcc_lo
	s_cbranch_execz .LBB0_26
; %bb.25:
	ds_read_b64 v[2:3], v35 offset:6528
	v_add_co_u32 v0, vcc_lo, 0x1800, v0
	v_add_co_ci_u32_e32 v1, vcc_lo, 0, v1, vcc_lo
	s_waitcnt lgkmcnt(0)
	global_store_dwordx2 v[0:1], v[2:3], off offset:384
.LBB0_26:
	s_endpgm
	.section	.rodata,"a",@progbits
	.p2align	6, 0x0
	.amdhsa_kernel fft_rtc_fwd_len816_factors_17_2_3_2_2_2_wgs_51_tpt_51_halfLds_sp_op_CI_CI_unitstride_sbrr_R2C_dirReg
		.amdhsa_group_segment_fixed_size 0
		.amdhsa_private_segment_fixed_size 0
		.amdhsa_kernarg_size 104
		.amdhsa_user_sgpr_count 6
		.amdhsa_user_sgpr_private_segment_buffer 1
		.amdhsa_user_sgpr_dispatch_ptr 0
		.amdhsa_user_sgpr_queue_ptr 0
		.amdhsa_user_sgpr_kernarg_segment_ptr 1
		.amdhsa_user_sgpr_dispatch_id 0
		.amdhsa_user_sgpr_flat_scratch_init 0
		.amdhsa_user_sgpr_private_segment_size 0
		.amdhsa_wavefront_size32 1
		.amdhsa_uses_dynamic_stack 0
		.amdhsa_system_sgpr_private_segment_wavefront_offset 0
		.amdhsa_system_sgpr_workgroup_id_x 1
		.amdhsa_system_sgpr_workgroup_id_y 0
		.amdhsa_system_sgpr_workgroup_id_z 0
		.amdhsa_system_sgpr_workgroup_info 0
		.amdhsa_system_vgpr_workitem_id 0
		.amdhsa_next_free_vgpr 177
		.amdhsa_next_free_sgpr 27
		.amdhsa_reserve_vcc 1
		.amdhsa_reserve_flat_scratch 0
		.amdhsa_float_round_mode_32 0
		.amdhsa_float_round_mode_16_64 0
		.amdhsa_float_denorm_mode_32 3
		.amdhsa_float_denorm_mode_16_64 3
		.amdhsa_dx10_clamp 1
		.amdhsa_ieee_mode 1
		.amdhsa_fp16_overflow 0
		.amdhsa_workgroup_processor_mode 1
		.amdhsa_memory_ordered 1
		.amdhsa_forward_progress 0
		.amdhsa_shared_vgpr_count 0
		.amdhsa_exception_fp_ieee_invalid_op 0
		.amdhsa_exception_fp_denorm_src 0
		.amdhsa_exception_fp_ieee_div_zero 0
		.amdhsa_exception_fp_ieee_overflow 0
		.amdhsa_exception_fp_ieee_underflow 0
		.amdhsa_exception_fp_ieee_inexact 0
		.amdhsa_exception_int_div_zero 0
	.end_amdhsa_kernel
	.text
.Lfunc_end0:
	.size	fft_rtc_fwd_len816_factors_17_2_3_2_2_2_wgs_51_tpt_51_halfLds_sp_op_CI_CI_unitstride_sbrr_R2C_dirReg, .Lfunc_end0-fft_rtc_fwd_len816_factors_17_2_3_2_2_2_wgs_51_tpt_51_halfLds_sp_op_CI_CI_unitstride_sbrr_R2C_dirReg
                                        ; -- End function
	.section	.AMDGPU.csdata,"",@progbits
; Kernel info:
; codeLenInByte = 13560
; NumSgprs: 29
; NumVgprs: 177
; ScratchSize: 0
; MemoryBound: 0
; FloatMode: 240
; IeeeMode: 1
; LDSByteSize: 0 bytes/workgroup (compile time only)
; SGPRBlocks: 3
; VGPRBlocks: 22
; NumSGPRsForWavesPerEU: 29
; NumVGPRsForWavesPerEU: 177
; Occupancy: 5
; WaveLimiterHint : 1
; COMPUTE_PGM_RSRC2:SCRATCH_EN: 0
; COMPUTE_PGM_RSRC2:USER_SGPR: 6
; COMPUTE_PGM_RSRC2:TRAP_HANDLER: 0
; COMPUTE_PGM_RSRC2:TGID_X_EN: 1
; COMPUTE_PGM_RSRC2:TGID_Y_EN: 0
; COMPUTE_PGM_RSRC2:TGID_Z_EN: 0
; COMPUTE_PGM_RSRC2:TIDIG_COMP_CNT: 0
	.text
	.p2alignl 6, 3214868480
	.fill 48, 4, 3214868480
	.type	__hip_cuid_571e56ef4c390682,@object ; @__hip_cuid_571e56ef4c390682
	.section	.bss,"aw",@nobits
	.globl	__hip_cuid_571e56ef4c390682
__hip_cuid_571e56ef4c390682:
	.byte	0                               ; 0x0
	.size	__hip_cuid_571e56ef4c390682, 1

	.ident	"AMD clang version 19.0.0git (https://github.com/RadeonOpenCompute/llvm-project roc-6.4.0 25133 c7fe45cf4b819c5991fe208aaa96edf142730f1d)"
	.section	".note.GNU-stack","",@progbits
	.addrsig
	.addrsig_sym __hip_cuid_571e56ef4c390682
	.amdgpu_metadata
---
amdhsa.kernels:
  - .args:
      - .actual_access:  read_only
        .address_space:  global
        .offset:         0
        .size:           8
        .value_kind:     global_buffer
      - .offset:         8
        .size:           8
        .value_kind:     by_value
      - .actual_access:  read_only
        .address_space:  global
        .offset:         16
        .size:           8
        .value_kind:     global_buffer
      - .actual_access:  read_only
        .address_space:  global
        .offset:         24
        .size:           8
        .value_kind:     global_buffer
      - .actual_access:  read_only
        .address_space:  global
        .offset:         32
        .size:           8
        .value_kind:     global_buffer
      - .offset:         40
        .size:           8
        .value_kind:     by_value
      - .actual_access:  read_only
        .address_space:  global
        .offset:         48
        .size:           8
        .value_kind:     global_buffer
      - .actual_access:  read_only
        .address_space:  global
        .offset:         56
        .size:           8
        .value_kind:     global_buffer
      - .offset:         64
        .size:           4
        .value_kind:     by_value
      - .actual_access:  read_only
        .address_space:  global
        .offset:         72
        .size:           8
        .value_kind:     global_buffer
      - .actual_access:  read_only
        .address_space:  global
        .offset:         80
        .size:           8
        .value_kind:     global_buffer
      - .actual_access:  read_only
        .address_space:  global
        .offset:         88
        .size:           8
        .value_kind:     global_buffer
      - .actual_access:  write_only
        .address_space:  global
        .offset:         96
        .size:           8
        .value_kind:     global_buffer
    .group_segment_fixed_size: 0
    .kernarg_segment_align: 8
    .kernarg_segment_size: 104
    .language:       OpenCL C
    .language_version:
      - 2
      - 0
    .max_flat_workgroup_size: 51
    .name:           fft_rtc_fwd_len816_factors_17_2_3_2_2_2_wgs_51_tpt_51_halfLds_sp_op_CI_CI_unitstride_sbrr_R2C_dirReg
    .private_segment_fixed_size: 0
    .sgpr_count:     29
    .sgpr_spill_count: 0
    .symbol:         fft_rtc_fwd_len816_factors_17_2_3_2_2_2_wgs_51_tpt_51_halfLds_sp_op_CI_CI_unitstride_sbrr_R2C_dirReg.kd
    .uniform_work_group_size: 1
    .uses_dynamic_stack: false
    .vgpr_count:     177
    .vgpr_spill_count: 0
    .wavefront_size: 32
    .workgroup_processor_mode: 1
amdhsa.target:   amdgcn-amd-amdhsa--gfx1030
amdhsa.version:
  - 1
  - 2
...

	.end_amdgpu_metadata
